;; amdgpu-corpus repo=ROCm/rocFFT kind=compiled arch=gfx1201 opt=O3
	.text
	.amdgcn_target "amdgcn-amd-amdhsa--gfx1201"
	.amdhsa_code_object_version 6
	.protected	bluestein_single_back_len11200_dim1_half_op_CI_CI ; -- Begin function bluestein_single_back_len11200_dim1_half_op_CI_CI
	.globl	bluestein_single_back_len11200_dim1_half_op_CI_CI
	.p2align	8
	.type	bluestein_single_back_len11200_dim1_half_op_CI_CI,@function
bluestein_single_back_len11200_dim1_half_op_CI_CI: ; @bluestein_single_back_len11200_dim1_half_op_CI_CI
; %bb.0:
	s_load_b128 s[8:11], s[0:1], 0x28
	v_mul_u32_u24_e32 v1, 0x125, v0
	s_mov_b32 s2, exec_lo
	v_mov_b32_e32 v81, 0
	s_delay_alu instid0(VALU_DEP_2) | instskip(NEXT) | instid1(VALU_DEP_1)
	v_lshrrev_b32_e32 v1, 17, v1
	v_add_nc_u32_e32 v80, ttmp9, v1
	s_wait_kmcnt 0x0
	s_delay_alu instid0(VALU_DEP_1)
	v_cmpx_gt_u64_e64 s[8:9], v[80:81]
	s_cbranch_execz .LBB0_31
; %bb.1:
	s_load_b128 s[4:7], s[0:1], 0x18
	v_mul_lo_u16 v1, 0x1c0, v1
	s_movk_i32 s2, 0xe0f0
	s_mov_b32 s3, -1
	s_wait_kmcnt 0x0
	s_load_b128 s[12:15], s[4:5], 0x0
	s_load_b64 s[16:17], s[0:1], 0x0
	v_sub_nc_u16 v2, v0, v1
	s_wait_kmcnt 0x0
	v_mad_co_u64_u32 v[0:1], null, s14, v80, 0
	s_mul_u64 s[4:5], s[12:13], 0xaf0
	s_mul_u64 s[2:3], s[12:13], s[2:3]
	s_delay_alu instid0(SALU_CYCLE_1) | instskip(NEXT) | instid1(VALU_DEP_1)
	s_lshl_b64 s[2:3], s[2:3], 2
	v_mad_co_u64_u32 v[5:6], null, s15, v80, v[1:2]
	s_delay_alu instid0(VALU_DEP_1) | instskip(NEXT) | instid1(VALU_DEP_1)
	v_dual_mov_b32 v1, v5 :: v_dual_and_b32 v146, 0xffff, v2
	v_mad_co_u64_u32 v[3:4], null, s12, v146, 0
	s_delay_alu instid0(VALU_DEP_2) | instskip(NEXT) | instid1(VALU_DEP_2)
	v_lshlrev_b64_e32 v[0:1], 2, v[0:1]
	v_mad_co_u64_u32 v[6:7], null, s13, v146, v[4:5]
	v_lshlrev_b32_e32 v107, 2, v146
	s_delay_alu instid0(VALU_DEP_3) | instskip(NEXT) | instid1(VALU_DEP_4)
	v_add_co_u32 v0, vcc_lo, s10, v0
	v_add_co_ci_u32_e32 v1, vcc_lo, s11, v1, vcc_lo
	s_lshl_b64 s[10:11], s[4:5], 2
	s_delay_alu instid0(VALU_DEP_4)
	v_mov_b32_e32 v4, v6
	s_clause 0x10
	global_load_b32 v142, v107, s[16:17] offset:12992
	global_load_b32 v139, v107, s[16:17] offset:24192
	;; [unrolled: 1-line block ×4, first 2 shown]
	global_load_b32 v154, v107, s[16:17]
	global_load_b32 v145, v107, s[16:17] offset:1792
	global_load_b32 v137, v107, s[16:17] offset:3584
	;; [unrolled: 1-line block ×12, first 2 shown]
	v_lshlrev_b64_e32 v[3:4], 2, v[3:4]
	s_clause 0x6
	global_load_b32 v141, v107, s[16:17] offset:35392
	global_load_b32 v133, v107, s[16:17] offset:37184
	;; [unrolled: 1-line block ×7, first 2 shown]
	v_add_co_u32 v78, s12, s16, v107
	s_wait_alu 0xf1ff
	v_add_co_ci_u32_e64 v79, null, s17, 0, s12
	v_add_co_u32 v0, vcc_lo, v0, v3
	s_wait_alu 0xfffd
	v_add_co_ci_u32_e32 v1, vcc_lo, v1, v4, vcc_lo
	s_wait_alu 0xfffe
	s_delay_alu instid0(VALU_DEP_2) | instskip(SKIP_1) | instid1(VALU_DEP_2)
	v_add_co_u32 v3, vcc_lo, v0, s10
	s_wait_alu 0xfffd
	v_add_co_ci_u32_e32 v4, vcc_lo, s11, v1, vcc_lo
	s_clause 0x1
	global_load_b32 v7, v[0:1], off
	global_load_b32 v8, v[3:4], off
	v_add_co_u32 v0, vcc_lo, v3, s10
	s_wait_alu 0xfffd
	v_add_co_ci_u32_e32 v1, vcc_lo, s11, v4, vcc_lo
	s_delay_alu instid0(VALU_DEP_2) | instskip(SKIP_1) | instid1(VALU_DEP_2)
	v_add_co_u32 v3, vcc_lo, v0, s10
	s_wait_alu 0xfffd
	v_add_co_ci_u32_e32 v4, vcc_lo, s11, v1, vcc_lo
	s_clause 0x1
	global_load_b32 v9, v[0:1], off
	global_load_b32 v10, v[3:4], off
	v_add_co_u32 v0, vcc_lo, v3, s2
	s_wait_alu 0xfffd
	v_add_co_ci_u32_e32 v1, vcc_lo, s3, v4, vcc_lo
	s_delay_alu instid0(VALU_DEP_2) | instskip(SKIP_1) | instid1(VALU_DEP_2)
	v_add_co_u32 v3, vcc_lo, v0, s10
	s_wait_alu 0xfffd
	v_add_co_ci_u32_e32 v4, vcc_lo, s11, v1, vcc_lo
	global_load_b32 v11, v[0:1], off
	global_load_b32 v12, v[3:4], off
	v_add_co_u32 v0, vcc_lo, v3, s10
	s_wait_alu 0xfffd
	v_add_co_ci_u32_e32 v1, vcc_lo, s11, v4, vcc_lo
	s_delay_alu instid0(VALU_DEP_2) | instskip(SKIP_1) | instid1(VALU_DEP_2)
	v_add_co_u32 v3, vcc_lo, v0, s10
	s_wait_alu 0xfffd
	v_add_co_ci_u32_e32 v4, vcc_lo, s11, v1, vcc_lo
	global_load_b32 v13, v[0:1], off
	global_load_b32 v14, v[3:4], off
	v_add_co_u32 v0, vcc_lo, v3, s2
	s_wait_alu 0xfffd
	v_add_co_ci_u32_e32 v1, vcc_lo, s3, v4, vcc_lo
	s_delay_alu instid0(VALU_DEP_2) | instskip(SKIP_1) | instid1(VALU_DEP_2)
	v_add_co_u32 v3, vcc_lo, v0, s10
	s_wait_alu 0xfffd
	v_add_co_ci_u32_e32 v4, vcc_lo, s11, v1, vcc_lo
	global_load_b32 v15, v[0:1], off
	v_add_co_u32 v0, vcc_lo, v3, s10
	s_wait_alu 0xfffd
	v_add_co_ci_u32_e32 v1, vcc_lo, s11, v4, vcc_lo
	global_load_b32 v16, v[3:4], off
	v_add_co_u32 v3, vcc_lo, v0, s10
	s_wait_alu 0xfffd
	v_add_co_ci_u32_e32 v4, vcc_lo, s11, v1, vcc_lo
	global_load_b32 v17, v[0:1], off
	global_load_b32 v18, v[3:4], off
	v_add_co_u32 v0, vcc_lo, v3, s2
	s_wait_alu 0xfffd
	v_add_co_ci_u32_e32 v1, vcc_lo, s3, v4, vcc_lo
	s_delay_alu instid0(VALU_DEP_2) | instskip(SKIP_1) | instid1(VALU_DEP_2)
	v_add_co_u32 v3, vcc_lo, v0, s10
	s_wait_alu 0xfffd
	v_add_co_ci_u32_e32 v4, vcc_lo, s11, v1, vcc_lo
	global_load_b32 v19, v[0:1], off
	global_load_b32 v20, v[3:4], off
	v_add_co_u32 v0, vcc_lo, v3, s10
	s_wait_alu 0xfffd
	v_add_co_ci_u32_e32 v1, vcc_lo, s11, v4, vcc_lo
	s_delay_alu instid0(VALU_DEP_2) | instskip(SKIP_1) | instid1(VALU_DEP_2)
	v_add_co_u32 v3, vcc_lo, v0, s10
	s_wait_alu 0xfffd
	v_add_co_ci_u32_e32 v4, vcc_lo, s11, v1, vcc_lo
	global_load_b32 v21, v[0:1], off
	global_load_b32 v22, v[3:4], off
	v_add_co_u32 v0, vcc_lo, v3, s2
	s_wait_alu 0xfffd
	v_add_co_ci_u32_e32 v1, vcc_lo, s3, v4, vcc_lo
	s_delay_alu instid0(VALU_DEP_2) | instskip(SKIP_1) | instid1(VALU_DEP_2)
	v_add_co_u32 v3, vcc_lo, v0, s10
	s_wait_alu 0xfffd
	v_add_co_ci_u32_e32 v4, vcc_lo, s11, v1, vcc_lo
	global_load_b32 v23, v[0:1], off
	v_add_co_u32 v0, vcc_lo, v3, s10
	s_wait_alu 0xfffd
	v_add_co_ci_u32_e32 v1, vcc_lo, s11, v4, vcc_lo
	global_load_b32 v24, v[3:4], off
	v_add_co_u32 v3, vcc_lo, v0, s10
	s_wait_alu 0xfffd
	v_add_co_ci_u32_e32 v4, vcc_lo, s11, v1, vcc_lo
	global_load_b32 v25, v[0:1], off
	global_load_b32 v26, v[3:4], off
	v_add_co_u32 v0, vcc_lo, v3, s2
	s_wait_alu 0xfffd
	v_add_co_ci_u32_e32 v1, vcc_lo, s3, v4, vcc_lo
	s_delay_alu instid0(VALU_DEP_2) | instskip(SKIP_1) | instid1(VALU_DEP_2)
	v_add_co_u32 v3, vcc_lo, v0, s10
	s_wait_alu 0xfffd
	v_add_co_ci_u32_e32 v4, vcc_lo, s11, v1, vcc_lo
	global_load_b32 v27, v[0:1], off
	v_add_co_u32 v5, vcc_lo, v3, s10
	s_wait_alu 0xfffd
	v_add_co_ci_u32_e32 v6, vcc_lo, s11, v4, vcc_lo
	global_load_b32 v28, v[3:4], off
	;; [unrolled: 4-line block ×3, first 2 shown]
	global_load_b32 v29, v[0:1], off
	s_load_b64 s[8:9], s[0:1], 0x38
	s_load_b128 s[4:7], s[6:7], 0x0
	v_add_nc_u32_e32 v3, 0xc0, v107
	v_add_nc_u32_e32 v4, 0x80, v107
	;; [unrolled: 1-line block ×3, first 2 shown]
	v_cmp_gt_u16_e32 vcc_lo, 0x70, v2
	s_wait_loadcnt 0x2b
	v_lshrrev_b32_e32 v32, 16, v154
	s_wait_loadcnt 0x2a
	v_lshrrev_b32_e32 v55, 16, v145
	v_lshrrev_b32_e32 v54, 16, v142
	s_wait_loadcnt 0x22
	v_lshrrev_b32_e32 v57, 16, v152
	;; [unrolled: 3-line block ×3, first 2 shown]
	s_wait_loadcnt 0x1e
	v_lshrrev_b32_e32 v52, 16, v141
	s_wait_loadcnt 0x19
	v_lshrrev_b32_e32 v35, 16, v149
	v_lshrrev_b32_e32 v51, 16, v137
	;; [unrolled: 1-line block ×15, first 2 shown]
	s_wait_loadcnt 0x17
	v_lshrrev_b32_e32 v30, 16, v7
	v_mul_f16_e32 v31, v32, v7
	v_lshrrev_b32_e32 v37, 16, v109
	s_wait_loadcnt 0x16
	v_lshrrev_b32_e32 v33, 16, v8
	v_mul_f16_e32 v34, v57, v8
	v_mul_f16_e32 v32, v32, v30
	v_fma_f16 v30, v154, v30, -v31
	v_lshrrev_b32_e32 v36, 16, v108
	s_delay_alu instid0(VALU_DEP_3)
	v_fmac_f16_e64 v32, v154, v7
	v_mul_f16_e32 v7, v57, v33
	v_fma_f16 v33, v152, v33, -v34
	s_wait_loadcnt 0x15
	v_lshrrev_b32_e32 v31, 16, v9
	v_mul_f16_e32 v34, v56, v9
	v_pack_b32_f16 v30, v32, v30
	v_fmac_f16_e64 v7, v152, v8
	s_wait_loadcnt 0x14
	v_lshrrev_b32_e32 v32, 16, v10
	v_mul_f16_e32 v8, v56, v31
	v_fma_f16 v31, v151, v31, -v34
	v_mul_f16_e32 v34, v35, v10
	v_pack_b32_f16 v7, v7, v33
	s_delay_alu instid0(VALU_DEP_4) | instskip(SKIP_1) | instid1(VALU_DEP_4)
	v_fmac_f16_e64 v8, v151, v9
	v_mul_f16_e32 v9, v35, v32
	v_fma_f16 v32, v149, v32, -v34
	s_wait_loadcnt 0x13
	v_lshrrev_b32_e32 v33, 16, v11
	v_mul_f16_e32 v35, v55, v11
	v_pack_b32_f16 v8, v8, v31
	v_fmac_f16_e64 v9, v149, v10
	s_wait_loadcnt 0x12
	v_mul_f16_e32 v34, v54, v12
	v_mul_f16_e32 v10, v55, v33
	v_fma_f16 v31, v145, v33, -v35
	v_lshrrev_b32_e32 v33, 16, v12
	ds_store_b32 v107, v8 offset:22400
	v_pack_b32_f16 v8, v9, v32
	v_fmac_f16_e64 v10, v145, v11
	ds_store_b32 v107, v7 offset:11200
	ds_store_b32 v107, v8 offset:33600
	v_mul_f16_e32 v9, v54, v33
	s_wait_loadcnt 0x11
	v_lshrrev_b32_e32 v32, 16, v13
	v_fma_f16 v11, v142, v33, -v34
	v_mul_f16_e32 v33, v53, v13
	v_pack_b32_f16 v7, v10, v31
	v_fmac_f16_e64 v9, v142, v12
	v_mul_f16_e32 v8, v53, v32
	s_wait_loadcnt 0x10
	v_lshrrev_b32_e32 v12, 16, v14
	v_fma_f16 v10, v139, v32, -v33
	v_mul_f16_e32 v31, v52, v14
	ds_store_2addr_stride64_b32 v107, v30, v7 offset1:7
	v_pack_b32_f16 v7, v9, v11
	v_fmac_f16_e64 v8, v139, v13
	v_mul_f16_e32 v9, v52, v12
	s_wait_loadcnt 0xf
	v_lshrrev_b32_e32 v11, 16, v15
	v_fma_f16 v12, v141, v12, -v31
	v_mul_f16_e32 v13, v51, v15
	v_pack_b32_f16 v8, v8, v10
	v_fmac_f16_e64 v9, v141, v14
	v_mul_f16_e32 v10, v51, v11
	s_wait_loadcnt 0xe
	v_lshrrev_b32_e32 v14, 16, v16
	v_fma_f16 v11, v137, v11, -v13
	v_mul_f16_e32 v13, v50, v16
	;; [unrolled: 7-line block ×3, first 2 shown]
	v_pack_b32_f16 v10, v10, v11
	v_fmac_f16_e64 v12, v135, v16
	v_mul_f16_e32 v11, v49, v15
	s_wait_loadcnt 0xc
	v_lshrrev_b32_e32 v16, 16, v18
	v_mul_f16_e32 v30, v48, v18
	v_fma_f16 v14, v131, v15, -v14
	v_pack_b32_f16 v12, v12, v13
	v_fmac_f16_e64 v11, v131, v17
	v_mul_f16_e32 v13, v48, v16
	v_fma_f16 v15, v133, v16, -v30
	s_wait_loadcnt 0xb
	v_lshrrev_b32_e32 v16, 16, v19
	v_mul_f16_e32 v17, v47, v19
	ds_store_2addr_stride64_b32 v3, v7, v12 offset0:50 offset1:57
	v_pack_b32_f16 v7, v11, v14
	v_fmac_f16_e64 v13, v133, v18
	v_mul_f16_e32 v11, v47, v16
	v_fma_f16 v12, v129, v16, -v17
	s_wait_loadcnt 0xa
	v_lshrrev_b32_e32 v14, 16, v20
	v_mul_f16_e32 v16, v46, v20
	ds_store_2addr_stride64_b32 v4, v8, v7 offset0:94 offset1:101
	;; [unrolled: 8-line block ×3, first 2 shown]
	v_pack_b32_f16 v7, v11, v12
	v_fmac_f16_e32 v8, v127, v20
	v_mul_f16_e32 v9, v45, v14
	s_wait_loadcnt 0x8
	v_lshrrev_b32_e32 v12, 16, v22
	v_fma_f16 v11, v125, v14, -v15
	v_mul_f16_e32 v14, v44, v22
	ds_store_2addr_stride64_b32 v107, v10, v7 offset0:14 offset1:21
	v_pack_b32_f16 v7, v8, v13
	v_fmac_f16_e32 v9, v125, v21
	v_mul_f16_e32 v8, v44, v12
	s_wait_loadcnt 0x7
	v_lshrrev_b32_e32 v10, 16, v23
	v_fma_f16 v12, v124, v12, -v14
	v_mul_f16_e32 v13, v43, v23
	v_pack_b32_f16 v9, v9, v11
	v_fmac_f16_e32 v8, v124, v22
	v_mul_f16_e32 v11, v43, v10
	s_wait_loadcnt 0x6
	v_lshrrev_b32_e32 v14, 16, v24
	v_fma_f16 v10, v121, v10, -v13
	v_mul_f16_e32 v13, v42, v24
	;; [unrolled: 7-line block ×3, first 2 shown]
	v_pack_b32_f16 v10, v11, v10
	v_fmac_f16_e32 v12, v119, v24
	v_mul_f16_e32 v11, v41, v15
	s_wait_loadcnt 0x4
	v_lshrrev_b32_e32 v16, 16, v26
	v_mul_f16_e32 v17, v40, v26
	v_fma_f16 v14, v117, v15, -v14
	v_pack_b32_f16 v12, v12, v13
	v_fmac_f16_e32 v11, v117, v25
	v_mul_f16_e32 v13, v40, v16
	v_fma_f16 v15, v116, v16, -v17
	s_wait_loadcnt 0x3
	v_lshrrev_b32_e32 v16, 16, v27
	v_mul_f16_e32 v17, v39, v27
	ds_store_2addr_stride64_b32 v3, v7, v12 offset0:64 offset1:71
	v_pack_b32_f16 v7, v11, v14
	v_fmac_f16_e32 v13, v116, v26
	v_mul_f16_e32 v11, v39, v16
	v_fma_f16 v12, v113, v16, -v17
	s_wait_loadcnt 0x2
	v_lshrrev_b32_e32 v14, 16, v28
	v_mul_f16_e32 v16, v38, v28
	ds_store_2addr_stride64_b32 v4, v9, v7 offset0:108 offset1:115
	s_wait_loadcnt 0x1
	v_lshrrev_b32_e32 v9, 16, v6
	v_pack_b32_f16 v7, v13, v15
	s_wait_loadcnt 0x0
	v_lshrrev_b32_e32 v13, 16, v29
	v_mul_f16_e32 v15, v38, v14
	v_fma_f16 v14, v112, v14, -v16
	v_mul_f16_e32 v16, v37, v6
	v_mul_f16_e32 v17, v37, v9
	;; [unrolled: 1-line block ×4, first 2 shown]
	v_fmac_f16_e32 v11, v113, v27
	v_fma_f16 v9, v109, v9, -v16
	v_fmac_f16_e32 v17, v109, v6
	v_fmac_f16_e32 v15, v112, v28
	;; [unrolled: 1-line block ×3, first 2 shown]
	v_fma_f16 v6, v108, v13, -v19
	ds_store_2addr_stride64_b32 v5, v8, v7 offset0:152 offset1:159
	v_pack_b32_f16 v7, v11, v12
	v_pack_b32_f16 v8, v17, v9
	;; [unrolled: 1-line block ×4, first 2 shown]
	ds_store_2addr_stride64_b32 v107, v10, v7 offset0:28 offset1:35
	ds_store_b32 v107, v8 offset:31360
	ds_store_b32 v107, v9 offset:20160
	;; [unrolled: 1-line block ×3, first 2 shown]
	s_and_saveexec_b32 s12, vcc_lo
	s_cbranch_execz .LBB0_3
; %bb.2:
	v_add_co_u32 v0, s2, v0, s2
	s_wait_alu 0xf1ff
	v_add_co_ci_u32_e64 v1, s2, s3, v1, s2
	global_load_b32 v10, v[78:79], off offset:10752
	global_load_b32 v2, v[0:1], off
	v_add_co_u32 v0, s2, v0, s10
	s_wait_alu 0xf1ff
	v_add_co_ci_u32_e64 v1, s2, s11, v1, s2
	s_clause 0x2
	global_load_b32 v11, v[78:79], off offset:21952
	global_load_b32 v12, v[78:79], off offset:33152
	;; [unrolled: 1-line block ×3, first 2 shown]
	v_add_co_u32 v6, s2, v0, s10
	s_wait_alu 0xf1ff
	v_add_co_ci_u32_e64 v7, s2, s11, v1, s2
	s_delay_alu instid0(VALU_DEP_2) | instskip(SKIP_1) | instid1(VALU_DEP_2)
	v_add_co_u32 v8, s2, v6, s10
	s_wait_alu 0xf1ff
	v_add_co_ci_u32_e64 v9, s2, s11, v7, s2
	global_load_b32 v0, v[0:1], off
	global_load_b32 v1, v[6:7], off
	;; [unrolled: 1-line block ×3, first 2 shown]
	s_wait_loadcnt 0x7
	v_lshrrev_b32_e32 v7, 16, v10
	s_wait_loadcnt 0x6
	v_lshrrev_b32_e32 v8, 16, v2
	s_delay_alu instid0(VALU_DEP_2)
	v_mul_f16_e32 v9, v7, v2
	s_wait_loadcnt 0x5
	v_lshrrev_b32_e32 v14, 16, v11
	s_wait_loadcnt 0x4
	v_lshrrev_b32_e32 v15, 16, v12
	v_mul_f16_e32 v7, v7, v8
	s_wait_loadcnt 0x3
	v_lshrrev_b32_e32 v16, 16, v13
	v_fma_f16 v8, v10, v8, -v9
	s_delay_alu instid0(VALU_DEP_3)
	v_fmac_f16_e32 v7, v10, v2
	s_wait_loadcnt 0x2
	v_lshrrev_b32_e32 v9, 16, v0
	v_mul_f16_e32 v17, v14, v0
	s_wait_loadcnt 0x1
	v_lshrrev_b32_e32 v2, 16, v1
	s_wait_loadcnt 0x0
	v_lshrrev_b32_e32 v10, 16, v6
	v_mul_f16_e32 v14, v14, v9
	v_fma_f16 v9, v11, v9, -v17
	v_mul_f16_e32 v17, v15, v1
	v_mul_f16_e32 v15, v15, v2
	;; [unrolled: 1-line block ×4, first 2 shown]
	v_fmac_f16_e32 v14, v11, v0
	v_fma_f16 v0, v12, v2, -v17
	v_fmac_f16_e32 v15, v12, v1
	v_fmac_f16_e32 v18, v13, v6
	v_fma_f16 v1, v13, v10, -v16
	v_pack_b32_f16 v2, v14, v9
	v_pack_b32_f16 v6, v7, v8
	;; [unrolled: 1-line block ×3, first 2 shown]
	s_delay_alu instid0(VALU_DEP_4)
	v_pack_b32_f16 v1, v18, v1
	ds_store_b32 v107, v2 offset:21952
	ds_store_b32 v107, v0 offset:33152
	;; [unrolled: 1-line block ×4, first 2 shown]
.LBB0_3:
	s_wait_alu 0xfffe
	s_or_b32 exec_lo, exec_lo, s12
	global_wb scope:SCOPE_SE
	s_wait_dscnt 0x0
	s_wait_kmcnt 0x0
	s_barrier_signal -1
	s_barrier_wait -1
	global_inv scope:SCOPE_SE
	ds_load_2addr_stride64_b32 v[17:18], v107 offset1:7
	ds_load_2addr_stride64_b32 v[19:20], v3 offset0:43 offset1:50
	ds_load_2addr_stride64_b32 v[23:24], v4 offset0:87 offset1:94
	;; [unrolled: 1-line block ×11, first 2 shown]
                                        ; implicit-def: $vgpr11
                                        ; implicit-def: $vgpr16
                                        ; implicit-def: $vgpr6
                                        ; implicit-def: $vgpr27
	s_and_saveexec_b32 s2, vcc_lo
	s_cbranch_execz .LBB0_5
; %bb.4:
	ds_load_b32 v6, v107 offset:21952
	ds_load_b32 v16, v107 offset:33152
	;; [unrolled: 1-line block ×4, first 2 shown]
.LBB0_5:
	s_wait_alu 0xfffe
	s_or_b32 exec_lo, exec_lo, s2
	s_wait_dscnt 0x4
	v_pk_add_f16 v47, v13, v22 neg_lo:[0,1] neg_hi:[0,1]
	v_pk_add_f16 v50, v8, v15 neg_lo:[0,1] neg_hi:[0,1]
	s_wait_dscnt 0x0
	v_pk_add_f16 v51, v2, v4 neg_lo:[0,1] neg_hi:[0,1]
	v_pk_add_f16 v52, v0, v9 neg_lo:[0,1] neg_hi:[0,1]
	;; [unrolled: 1-line block ×3, first 2 shown]
	v_lshrrev_b32_e32 v4, 16, v47
	v_lshrrev_b32_e32 v9, 16, v50
	v_pk_add_f16 v10, v1, v10 neg_lo:[0,1] neg_hi:[0,1]
	v_pk_add_f16 v5, v3, v5 neg_lo:[0,1] neg_hi:[0,1]
	;; [unrolled: 1-line block ×3, first 2 shown]
	v_sub_f16_e32 v54, v50, v4
	v_lshrrev_b32_e32 v4, 16, v52
	v_lshrrev_b32_e32 v21, 16, v41
	v_add_f16_e32 v56, v9, v47
	v_pk_fma_f16 v63, v1, 2.0, v10 op_sel_hi:[1,0,1] neg_lo:[0,0,1] neg_hi:[0,0,1]
	v_pk_add_f16 v1, v11, v16 neg_lo:[0,1] neg_hi:[0,1]
	v_add_f16_e32 v59, v4, v51
	v_pk_add_f16 v16, v6, v27 neg_lo:[0,1] neg_hi:[0,1]
	v_pk_fma_f16 v3, v3, 2.0, v5 op_sel_hi:[1,0,1] neg_lo:[0,0,1] neg_hi:[0,0,1]
	s_load_b64 s[2:3], s[0:1], 0x8
	v_add_co_u32 v44, s0, 0x380, v146
	s_wait_alu 0xf1ff
	v_add_co_ci_u32_e64 v28, null, 0, 0, s0
	v_pk_add_f16 v25, v19, v25 neg_lo:[0,1] neg_hi:[0,1]
	v_add_co_u32 v45, s0, 0x540, v146
	v_pk_add_f16 v23, v17, v23 neg_lo:[0,1] neg_hi:[0,1]
	v_pk_add_f16 v26, v20, v26 neg_lo:[0,1] neg_hi:[0,1]
	;; [unrolled: 1-line block ×3, first 2 shown]
	v_sub_f16_e32 v48, v14, v21
	v_lshrrev_b32_e32 v15, 16, v51
	v_fma_f16 v60, v9, 2.0, -v56
	v_fma_f16 v62, v4, 2.0, -v59
	v_lshrrev_b32_e32 v4, 16, v5
	v_lshrrev_b32_e32 v21, 16, v10
	v_pk_add_f16 v9, v63, v3 neg_lo:[0,1] neg_hi:[0,1]
	v_lshrrev_b32_e32 v3, 16, v16
	s_wait_alu 0xf1ff
	v_add_co_ci_u32_e64 v28, null, 0, 0, s0
	v_add_co_u32 v35, s0, 0x700, v146
	s_wait_alu 0xf1ff
	v_add_co_ci_u32_e64 v29, null, 0, 0, s0
	v_lshrrev_b32_e32 v28, 16, v25
	v_lshrrev_b32_e32 v29, 16, v23
	;; [unrolled: 1-line block ×4, first 2 shown]
	v_sub_f16_e32 v57, v52, v15
	v_sub_f16_e32 v15, v10, v4
	v_add_f16_e32 v37, v21, v5
	v_lshrrev_b32_e32 v5, 16, v1
	v_sub_f16_e32 v38, v1, v3
	v_sub_f16_e32 v28, v23, v28
	v_add_f16_e32 v31, v29, v25
	v_sub_f16_e32 v32, v24, v32
	v_add_f16_e32 v42, v33, v26
	v_lshrrev_b32_e32 v36, 16, v14
	v_pk_fma_f16 v22, v11, 2.0, v1 op_sel_hi:[1,0,1] neg_lo:[0,0,1] neg_hi:[0,0,1]
	v_pk_fma_f16 v6, v6, 2.0, v16 op_sel_hi:[1,0,1] neg_lo:[0,0,1] neg_hi:[0,0,1]
	v_fma_f16 v11, v10, 2.0, -v15
	v_pk_fma_f16 v3, v17, 2.0, v23 op_sel_hi:[1,0,1] neg_lo:[0,0,1] neg_hi:[0,0,1]
	v_pk_fma_f16 v10, v19, 2.0, v25 op_sel_hi:[1,0,1] neg_lo:[0,0,1] neg_hi:[0,0,1]
	v_add_f16_e32 v39, v16, v5
	v_fma_f16 v17, v1, 2.0, -v38
	v_pk_fma_f16 v1, v18, 2.0, v24 op_sel_hi:[1,0,1] neg_lo:[0,0,1] neg_hi:[0,0,1]
	v_pk_fma_f16 v16, v20, 2.0, v26 op_sel_hi:[1,0,1] neg_lo:[0,0,1] neg_hi:[0,0,1]
	v_add_co_u32 v43, null, 0x1c0, v146
	v_fma_f16 v34, v23, 2.0, -v28
	v_fma_f16 v29, v29, 2.0, -v31
	;; [unrolled: 1-line block ×4, first 2 shown]
	v_add_f16_e32 v49, v36, v41
	v_pk_add_f16 v6, v22, v6 neg_lo:[0,1] neg_hi:[0,1]
	v_pk_add_f16 v20, v3, v10 neg_lo:[0,1] neg_hi:[0,1]
	;; [unrolled: 1-line block ×3, first 2 shown]
	v_lshlrev_b32_e32 v103, 4, v146
	v_fma_f16 v55, v36, 2.0, -v49
	v_fma_f16 v36, v21, 2.0, -v37
	v_pk_fma_f16 v4, v22, 2.0, v6 op_sel_hi:[1,0,1] neg_lo:[0,0,1] neg_hi:[0,0,1]
	v_fma_f16 v40, v5, 2.0, -v39
	v_pk_fma_f16 v18, v3, 2.0, v20 op_sel_hi:[1,0,1] neg_lo:[0,0,1] neg_hi:[0,0,1]
	v_pack_b32_f16 v21, v28, v31
	v_pack_b32_f16 v19, v34, v29
	v_lshlrev_b32_e32 v5, 4, v43
	v_pk_fma_f16 v22, v1, 2.0, v24 op_sel_hi:[1,0,1] neg_lo:[0,0,1] neg_hi:[0,0,1]
	v_pack_b32_f16 v25, v32, v42
	v_pk_fma_f16 v1, v7, 2.0, v14 op_sel_hi:[1,0,1] neg_lo:[0,0,1] neg_hi:[0,0,1]
	v_pk_fma_f16 v3, v12, 2.0, v41 op_sel_hi:[1,0,1] neg_lo:[0,0,1] neg_hi:[0,0,1]
	v_pack_b32_f16 v23, v46, v33
	global_wb scope:SCOPE_SE
	s_wait_kmcnt 0x0
	s_barrier_signal -1
	s_barrier_wait -1
	global_inv scope:SCOPE_SE
	ds_store_b128 v103, v[18:21]
	v_pk_add_f16 v20, v1, v3 neg_lo:[0,1] neg_hi:[0,1]
	scratch_store_b32 off, v5, off offset:20 ; 4-byte Folded Spill
	ds_store_b128 v5, v[22:25]
	v_pk_fma_f16 v3, v8, 2.0, v50 op_sel_hi:[1,0,1] neg_lo:[0,0,1] neg_hi:[0,0,1]
	v_pk_fma_f16 v5, v13, 2.0, v47 op_sel_hi:[1,0,1] neg_lo:[0,0,1] neg_hi:[0,0,1]
	;; [unrolled: 1-line block ×4, first 2 shown]
	v_add_co_u32 v30, null, 0xa80, v146
	v_fma_f16 v53, v14, 2.0, -v48
	v_fma_f16 v58, v50, 2.0, -v54
	;; [unrolled: 1-line block ×3, first 2 shown]
	v_pk_add_f16 v2, v3, v5 neg_lo:[0,1] neg_hi:[0,1]
	v_pk_add_f16 v24, v7, v0 neg_lo:[0,1] neg_hi:[0,1]
	v_lshlrev_b32_e32 v12, 4, v44
	v_pk_fma_f16 v18, v1, 2.0, v20 op_sel_hi:[1,0,1] neg_lo:[0,0,1] neg_hi:[0,0,1]
	v_pack_b32_f16 v21, v48, v49
	v_pack_b32_f16 v19, v53, v55
	v_lshlrev_b32_e32 v5, 4, v45
	v_pk_fma_f16 v0, v3, 2.0, v2 op_sel_hi:[1,0,1] neg_lo:[0,0,1] neg_hi:[0,0,1]
	v_pack_b32_f16 v3, v54, v56
	v_pack_b32_f16 v1, v58, v60
	;; [unrolled: 4-line block ×4, first 2 shown]
	s_clause 0x1
	scratch_store_b32 off, v13, off offset:16
	scratch_store_b32 off, v12, off offset:8
	ds_store_b128 v12, v[18:21]
	s_clause 0x1
	scratch_store_b32 off, v5, off offset:12
	scratch_store_b32 off, v14, off
	ds_store_b128 v5, v[0:3]
	ds_store_b128 v14, v[22:25]
	ds_store_b128 v103, v[7:10] offset:35840
	s_and_saveexec_b32 s0, vcc_lo
	s_cbranch_execz .LBB0_7
; %bb.6:
	scratch_load_b32 v0, off, off offset:16 ; 4-byte Folded Reload
	v_perm_b32 v7, v39, v38, 0x5040100
	v_perm_b32 v5, v40, v17, 0x5040100
	s_wait_loadcnt 0x0
	ds_store_b128 v0, v[4:7]
.LBB0_7:
	s_wait_alu 0xfffe
	s_or_b32 exec_lo, exec_lo, s0
	global_wb scope:SCOPE_SE
	s_wait_storecnt_dscnt 0x0
	s_barrier_signal -1
	s_barrier_wait -1
	global_inv scope:SCOPE_SE
	ds_load_2addr_stride64_b32 v[13:14], v107 offset1:7
	ds_load_2addr_stride64_b32 v[7:8], v107 offset0:14 offset1:25
	ds_load_2addr_stride64_b32 v[33:34], v107 offset0:50 offset1:57
	;; [unrolled: 1-line block ×9, first 2 shown]
	ds_load_b32 v41, v107 offset:41984
	v_cmp_gt_u16_e64 s1, 0x100, v146
	s_delay_alu instid0(VALU_DEP_1)
	s_and_saveexec_b32 s0, s1
	s_cbranch_execz .LBB0_9
; %bb.8:
	ds_load_2addr_stride64_b32 v[11:12], v107 offset0:21 offset1:46
	ds_load_2addr_stride64_b32 v[15:16], v107 offset0:71 offset1:96
	;; [unrolled: 1-line block ×3, first 2 shown]
	ds_load_b32 v38, v107 offset:43776
	s_wait_dscnt 0x3
	v_lshrrev_b32_e32 v36, 16, v11
	s_wait_dscnt 0x2
	v_lshrrev_b32_e32 v37, 16, v15
	;; [unrolled: 2-line block ×4, first 2 shown]
	v_dual_mov_b32 v6, v18 :: v_dual_mov_b32 v9, v12
	v_mov_b32_e32 v4, v16
.LBB0_9:
	s_wait_alu 0xfffe
	s_or_b32 exec_lo, exec_lo, s0
	v_and_b32_e32 v159, 3, v146
	s_wait_dscnt 0x9
	v_lshrrev_b32_e32 v42, 16, v8
	s_wait_dscnt 0x8
	v_lshrrev_b32_e32 v46, 16, v33
	;; [unrolled: 2-line block ×4, first 2 shown]
	v_mul_u32_u24_e32 v0, 6, v159
	s_wait_dscnt 0x5
	v_lshrrev_b32_e32 v49, 16, v20
	s_wait_dscnt 0x4
	v_lshrrev_b32_e32 v50, 16, v29
	;; [unrolled: 2-line block ×3, first 2 shown]
	v_lshrrev_b32_e32 v52, 16, v34
	v_lshlrev_b32_e32 v5, 2, v0
	s_wait_dscnt 0x2
	v_lshrrev_b32_e32 v53, 16, v25
	v_lshrrev_b32_e32 v54, 16, v32
	s_wait_dscnt 0x1
	v_lshrrev_b32_e32 v55, 16, v23
	v_lshrrev_b32_e32 v56, 16, v30
	s_clause 0x1
	global_load_b128 v[0:3], v5, s[2:3]
	global_load_b64 v[81:82], v5, s[2:3] offset:16
	v_lshrrev_b32_e32 v57, 16, v28
	v_lshrrev_b32_e32 v58, 16, v21
	;; [unrolled: 1-line block ×5, first 2 shown]
	s_wait_dscnt 0x0
	v_lshrrev_b32_e32 v62, 16, v41
	v_lshrrev_b32_e32 v12, 16, v13
	v_lshrrev_b32_e32 v5, 16, v7
	v_lshrrev_b32_e32 v63, 16, v9
	v_lshrrev_b32_e32 v65, 16, v6
	v_lshrrev_b32_e32 v10, 16, v14
	v_lshrrev_b32_e32 v64, 16, v4
	global_wb scope:SCOPE_SE
	s_wait_loadcnt 0x0
	s_barrier_signal -1
	s_barrier_wait -1
	global_inv scope:SCOPE_SE
	v_lshrrev_b32_e32 v184, 16, v0
	v_lshrrev_b32_e32 v188, 16, v1
	;; [unrolled: 1-line block ×6, first 2 shown]
	v_mul_f16_e64 v66, v42, v184
	v_mul_f16_e64 v67, v8, v184
	;; [unrolled: 1-line block ×40, first 2 shown]
	v_fma_f16 v8, v8, v0, -v66
	v_fmac_f16_e32 v67, v42, v0
	v_fma_f16 v33, v33, v1, -v68
	v_fmac_f16_e32 v69, v46, v1
	;; [unrolled: 2-line block ×12, first 2 shown]
	v_fmac_f16_e32 v96, v57, v0
	v_fmac_f16_e32 v98, v58, v1
	;; [unrolled: 1-line block ×4, first 2 shown]
	v_mul_f16_e64 v118, v37, v188
	v_mul_f16_e64 v123, v40, v181
	v_fma_f16 v28, v28, v0, -v95
	v_fma_f16 v21, v21, v1, -v97
	;; [unrolled: 1-line block ×3, first 2 shown]
	v_fmac_f16_e32 v100, v59, v2
	v_fma_f16 v19, v19, v3, -v101
	v_fmac_f16_e32 v102, v60, v3
	v_fma_f16 v24, v24, v81, -v104
	v_fma_f16 v41, v41, v82, -v110
	v_fmac_f16_e32 v120, v37, v1
	v_fmac_f16_e32 v18, v40, v3
	v_fma_f16 v37, v38, v82, -v130
	v_fmac_f16_e64 v132, v39, v82
	v_add_f16_e32 v38, v8, v29
	v_add_f16_e32 v39, v67, v77
	v_sub_f16_e32 v8, v8, v29
	v_sub_f16_e32 v29, v67, v77
	v_add_f16_e32 v40, v33, v20
	v_add_f16_e32 v42, v69, v75
	v_sub_f16_e32 v20, v33, v20
	v_sub_f16_e32 v33, v69, v75
	;; [unrolled: 4-line block ×3, first 2 shown]
	v_add_f16_e32 v48, v27, v30
	v_sub_f16_e32 v27, v27, v30
	v_sub_f16_e32 v30, v84, v94
	v_add_f16_e32 v50, v34, v23
	v_sub_f16_e32 v23, v34, v23
	v_sub_f16_e32 v34, v86, v92
	;; [unrolled: 3-line block ×3, first 2 shown]
	v_add_f16_e32 v55, v96, v111
	v_add_f16_e32 v57, v98, v106
	;; [unrolled: 1-line block ×6, first 2 shown]
	v_sub_f16_e32 v28, v28, v41
	v_sub_f16_e32 v41, v96, v111
	v_add_f16_e32 v56, v21, v24
	v_sub_f16_e32 v21, v21, v24
	v_sub_f16_e32 v24, v98, v106
	v_add_f16_e32 v58, v26, v19
	v_add_f16_e32 v59, v100, v102
	v_sub_f16_e32 v19, v19, v26
	v_sub_f16_e32 v26, v102, v100
	v_add_f16_e32 v66, v40, v38
	v_add_f16_e32 v67, v42, v39
	v_sub_f16_e32 v68, v40, v38
	v_sub_f16_e32 v69, v42, v39
	;; [unrolled: 1-line block ×6, first 2 shown]
	v_add_f16_e32 v70, v22, v20
	v_add_f16_e32 v71, v31, v33
	v_sub_f16_e32 v72, v22, v20
	v_sub_f16_e32 v73, v31, v33
	;; [unrolled: 1-line block ×4, first 2 shown]
	v_add_f16_e32 v74, v50, v48
	v_add_f16_e32 v84, v32, v34
	v_sub_f16_e32 v86, v32, v34
	v_sub_f16_e32 v34, v34, v30
	v_add_f16_e32 v88, v57, v55
	v_sub_f16_e32 v22, v8, v22
	v_sub_f16_e32 v31, v29, v31
	;; [unrolled: 3-line block ×3, first 2 shown]
	v_sub_f16_e32 v48, v48, v52
	v_sub_f16_e32 v49, v49, v53
	;; [unrolled: 1-line block ×4, first 2 shown]
	v_add_f16_e32 v83, v25, v23
	v_sub_f16_e32 v85, v25, v23
	v_sub_f16_e32 v32, v30, v32
	;; [unrolled: 1-line block ×3, first 2 shown]
	v_add_f16_e32 v87, v56, v54
	v_sub_f16_e32 v90, v57, v55
	v_sub_f16_e32 v55, v55, v59
	v_sub_f16_e32 v57, v59, v57
	v_add_f16_e32 v91, v19, v21
	v_add_f16_e32 v92, v26, v24
	v_sub_f16_e32 v93, v19, v21
	v_sub_f16_e32 v94, v26, v24
	;; [unrolled: 1-line block ×4, first 2 shown]
	v_add_f16_e32 v46, v46, v66
	v_add_f16_e32 v47, v47, v67
	;; [unrolled: 1-line block ×4, first 2 shown]
	v_mul_f16_e32 v38, 0x3a52, v38
	v_mul_f16_e32 v39, 0x3a52, v39
	;; [unrolled: 1-line block ×8, first 2 shown]
	v_add_f16_e32 v52, v52, v74
	v_add_f16_e32 v30, v84, v30
	v_mul_f16_e32 v84, 0xb846, v86
	v_mul_f16_e32 v86, 0x3b00, v34
	v_add_f16_e32 v59, v59, v88
	v_mul_f16_e64 v114, v63, v184
	v_mul_f16_e64 v115, v9, v184
	;; [unrolled: 1-line block ×4, first 2 shown]
	v_sub_f16_e32 v25, v27, v25
	v_sub_f16_e32 v89, v56, v54
	;; [unrolled: 1-line block ×6, first 2 shown]
	v_add_f16_e32 v53, v53, v75
	v_add_f16_e32 v27, v83, v27
	v_mul_f16_e32 v48, 0x3a52, v48
	v_mul_f16_e32 v49, 0x3a52, v49
	v_mul_f16_e32 v74, 0x2b26, v50
	v_mul_f16_e32 v75, 0x2b26, v51
	v_mul_f16_e32 v83, 0xb846, v85
	v_mul_f16_e32 v85, 0x3b00, v23
	v_add_f16_e32 v58, v58, v87
	v_add_f16_e32 v28, v91, v28
	;; [unrolled: 1-line block ×3, first 2 shown]
	v_mul_f16_e32 v55, 0x3a52, v55
	v_mul_f16_e32 v88, 0x2b26, v57
	;; [unrolled: 1-line block ×6, first 2 shown]
	v_add_f16_e32 v95, v13, v46
	v_add_f16_e32 v96, v12, v47
	v_fmamk_f16 v12, v40, 0x2b26, v38
	v_fmamk_f16 v13, v42, 0x2b26, v39
	v_fma_f16 v40, v68, 0x39e0, -v66
	v_fma_f16 v42, v69, 0x39e0, -v67
	;; [unrolled: 1-line block ×3, first 2 shown]
	v_fmamk_f16 v66, v22, 0x3574, v70
	v_fmamk_f16 v67, v31, 0x3574, v71
	v_fma_f16 v20, v20, 0x3b00, -v70
	v_fma_f16 v33, v33, 0x3b00, -v71
	;; [unrolled: 1-line block ×4, first 2 shown]
	v_add_f16_e32 v68, v14, v52
	v_fmamk_f16 v71, v32, 0x3574, v84
	v_fma_f16 v34, v34, 0x3b00, -v84
	v_fma_f16 v32, v32, 0xb574, -v86
	v_add_f16_e32 v73, v5, v59
	v_mul_f16_e64 v122, v64, v187
	v_mul_f16_e64 v16, v4, v187
	v_fma_f16 v9, v9, v0, -v114
	v_fmac_f16_e32 v115, v63, v0
	v_fma_f16 v15, v15, v1, -v118
	v_fma_f16 v6, v6, v81, -v126
	v_fmac_f16_e64 v128, v65, v81
	v_mul_f16_e32 v54, 0x3a52, v54
	v_mul_f16_e32 v87, 0x2b26, v56
	v_fma_f16 v39, v69, 0xb9e0, -v39
	v_add_f16_e32 v69, v10, v53
	v_fmamk_f16 v10, v50, 0x2b26, v48
	v_fmamk_f16 v14, v51, 0x2b26, v49
	v_fma_f16 v50, v76, 0x39e0, -v74
	v_fma_f16 v51, v77, 0x39e0, -v75
	;; [unrolled: 1-line block ×3, first 2 shown]
	v_fmamk_f16 v70, v25, 0x3574, v83
	v_fma_f16 v23, v23, 0x3b00, -v83
	v_fma_f16 v25, v25, 0xb574, -v85
	v_add_f16_e32 v72, v7, v58
	v_fmamk_f16 v7, v57, 0x2b26, v55
	v_fma_f16 v57, v90, 0x39e0, -v88
	v_fma_f16 v55, v90, 0xb9e0, -v55
	v_fmamk_f16 v74, v19, 0x3574, v91
	v_fmamk_f16 v75, v26, 0x3574, v92
	v_fma_f16 v21, v21, 0x3b00, -v91
	v_fma_f16 v24, v24, 0x3b00, -v92
	v_fma_f16 v19, v19, 0xb574, -v93
	v_fma_f16 v26, v26, 0xb574, -v94
	v_fmamk_f16 v46, v46, 0xbcab, v95
	v_fmamk_f16 v47, v47, 0xbcab, v96
	v_fmac_f16_e32 v66, 0x370e, v8
	v_fmac_f16_e32 v20, 0x370e, v8
	;; [unrolled: 1-line block ×3, first 2 shown]
	v_fmamk_f16 v8, v52, 0xbcab, v68
	v_fmac_f16_e32 v71, 0x370e, v30
	v_fmac_f16_e32 v34, 0x370e, v30
	;; [unrolled: 1-line block ×3, first 2 shown]
	v_fmamk_f16 v30, v59, 0xbcab, v73
	v_fma_f16 v4, v4, v2, -v122
	v_fmac_f16_e32 v16, v64, v2
	v_fma_f16 v17, v17, v3, -v123
	v_add_f16_e32 v60, v9, v37
	v_add_f16_e64 v61, v115, v132
	v_add_f16_e32 v62, v15, v6
	v_add_f16_e64 v63, v120, v128
	v_fma_f16 v49, v77, 0xb9e0, -v49
	v_fmamk_f16 v5, v56, 0x2b26, v54
	v_fma_f16 v56, v89, 0x39e0, -v87
	v_fma_f16 v54, v89, 0xb9e0, -v54
	v_fmac_f16_e32 v67, 0x370e, v29
	v_fmac_f16_e32 v33, 0x370e, v29
	;; [unrolled: 1-line block ×3, first 2 shown]
	v_fmamk_f16 v29, v53, 0xbcab, v69
	v_fmac_f16_e32 v70, 0x370e, v27
	v_fmac_f16_e32 v23, 0x370e, v27
	;; [unrolled: 1-line block ×3, first 2 shown]
	v_fmamk_f16 v27, v58, 0xbcab, v72
	v_fmac_f16_e32 v74, 0x370e, v28
	v_fmac_f16_e32 v75, 0x370e, v41
	;; [unrolled: 1-line block ×6, first 2 shown]
	v_add_f16_e32 v13, v13, v47
	v_add_f16_e32 v28, v40, v46
	v_add_f16_e32 v40, v42, v47
	v_add_f16_e32 v39, v39, v47
	v_add_f16_e32 v10, v10, v8
	v_add_f16_e32 v41, v50, v8
	v_add_f16_e32 v8, v48, v8
	v_add_f16_e32 v7, v7, v30
	v_add_f16_e32 v47, v57, v30
	v_add_f16_e32 v30, v55, v30
	v_sub_f16_e32 v9, v9, v37
	v_sub_f16_e32 v6, v15, v6
	v_add_f16_e32 v64, v4, v17
	v_add_f16_e32 v65, v16, v18
	;; [unrolled: 1-line block ×11, first 2 shown]
	v_sub_f16_e32 v32, v8, v32
	v_sub_f16_e32 v76, v7, v74
	;; [unrolled: 1-line block ×3, first 2 shown]
	v_add_f16_e32 v19, v19, v30
	v_add_f16_e32 v30, v74, v7
	v_sub_f16_e32 v4, v17, v4
	v_add_f16_e32 v7, v62, v60
	v_add_f16_e32 v8, v63, v61
	v_sub_f16_e64 v37, v115, v132
	v_sub_f16_e64 v15, v120, v128
	v_sub_f16_e32 v49, v13, v66
	v_add_f16_e32 v50, v31, v38
	v_sub_f16_e32 v51, v39, v22
	v_sub_f16_e32 v31, v38, v31
	v_add_f16_e32 v22, v22, v39
	v_add_f16_e32 v38, v66, v13
	;; [unrolled: 1-line block ×3, first 2 shown]
	v_sub_f16_e32 v54, v14, v70
	v_sub_f16_e32 v56, v29, v25
	;; [unrolled: 1-line block ×3, first 2 shown]
	v_add_f16_e32 v34, v34, v41
	v_add_f16_e32 v25, v25, v29
	v_sub_f16_e32 v29, v10, v71
	v_add_f16_e32 v70, v70, v14
	v_add_f16_e32 v71, v75, v5
	;; [unrolled: 1-line block ×3, first 2 shown]
	v_sub_f16_e32 v26, v27, v26
	v_sub_f16_e32 v27, v5, v75
	;; [unrolled: 1-line block ×6, first 2 shown]
	v_add_f16_e32 v18, v4, v6
	v_sub_f16_e32 v41, v4, v6
	v_sub_f16_e32 v6, v6, v9
	v_add_f16_e32 v7, v64, v7
	v_add_f16_e32 v8, v65, v8
	;; [unrolled: 1-line block ×3, first 2 shown]
	v_sub_f16_e32 v52, v28, v33
	v_add_f16_e32 v53, v20, v40
	v_add_f16_e32 v28, v33, v28
	v_sub_f16_e32 v20, v40, v20
	v_sub_f16_e32 v33, v12, v67
	v_add_f16_e32 v67, v23, v42
	v_sub_f16_e32 v23, v42, v23
	v_sub_f16_e32 v84, v46, v24
	v_add_f16_e32 v85, v21, v47
	v_add_f16_e32 v24, v24, v46
	v_sub_f16_e32 v21, v47, v21
	v_sub_f16_e32 v10, v62, v60
	;; [unrolled: 1-line block ×4, first 2 shown]
	v_add_f16_e32 v40, v5, v15
	v_sub_f16_e32 v42, v5, v15
	v_sub_f16_e32 v46, v9, v4
	;; [unrolled: 1-line block ×3, first 2 shown]
	v_add_f16_e32 v18, v18, v9
	v_add_f16_e32 v4, v11, v7
	;; [unrolled: 1-line block ×3, first 2 shown]
	v_mul_f16_e32 v9, 0x3a52, v13
	v_mul_f16_e32 v11, 0x3a52, v14
	;; [unrolled: 1-line block ×5, first 2 shown]
	v_sub_f16_e32 v15, v15, v37
	v_mul_f16_e32 v14, 0x2b26, v17
	v_fmamk_f16 v57, v7, 0xbcab, v4
	v_fmamk_f16 v17, v17, 0x2b26, v11
	v_fma_f16 v59, v10, 0x39e0, -v13
	v_fma_f16 v62, v12, 0xb9e0, -v11
	v_fmamk_f16 v7, v46, 0x3574, v36
	v_fma_f16 v11, v6, 0x3b00, -v36
	v_fma_f16 v13, v46, 0xb574, -v41
	v_lshrrev_b32_e32 v36, 2, v146
	v_add_f16_e32 v37, v40, v37
	v_mul_f16_e32 v40, 0xb846, v42
	v_mul_f16_e32 v42, 0x3b00, v15
	v_fmac_f16_e32 v7, 0x370e, v18
	v_fmac_f16_e32 v11, 0x370e, v18
	;; [unrolled: 1-line block ×3, first 2 shown]
	v_mul_u32_u24_e32 v18, 28, v36
	v_fmamk_f16 v58, v8, 0xbcab, v5
	v_fmamk_f16 v16, v16, 0x2b26, v9
	v_fma_f16 v61, v10, 0xb9e0, -v9
	v_fmamk_f16 v8, v47, 0x3574, v40
	v_fma_f16 v6, v15, 0x3b00, -v40
	v_fma_f16 v9, v47, 0xb574, -v42
	v_or_b32_e32 v18, v18, v159
	v_pack_b32_f16 v36, v95, v96
	v_fmac_f16_e32 v8, 0x370e, v37
	v_fmac_f16_e32 v6, 0x370e, v37
	;; [unrolled: 1-line block ×3, first 2 shown]
	v_lshlrev_b32_e32 v197, 2, v18
	v_lshrrev_b32_e32 v18, 2, v43
	v_pack_b32_f16 v37, v48, v49
	v_pack_b32_f16 v46, v50, v51
	;; [unrolled: 1-line block ×6, first 2 shown]
	v_mul_u32_u24_e32 v18, 28, v18
	ds_store_2addr_b32 v197, v36, v37 offset1:4
	ds_store_2addr_b32 v197, v46, v47 offset0:8 offset1:12
	ds_store_2addr_b32 v197, v20, v22 offset0:16 offset1:20
	ds_store_b32 v197, v28 offset:96
	v_lshrrev_b32_e32 v20, 2, v44
	v_fma_f16 v60, v12, 0x39e0, -v14
	v_or_b32_e32 v18, v18, v159
	v_add_f16_e32 v12, v16, v57
	v_add_f16_e32 v14, v17, v58
	v_mul_u32_u24_e32 v20, 28, v20
	v_add_f16_e32 v10, v59, v57
	v_add_f16_e32 v16, v60, v58
	;; [unrolled: 1-line block ×4, first 2 shown]
	v_lshlrev_b32_e32 v166, 2, v18
	v_pack_b32_f16 v18, v68, v69
	v_pack_b32_f16 v22, v39, v54
	v_or_b32_e32 v20, v20, v159
	v_pack_b32_f16 v28, v55, v56
	v_pack_b32_f16 v31, v66, v67
	;; [unrolled: 1-line block ×5, first 2 shown]
	v_add_f16_e32 v40, v6, v10
	v_sub_f16_e32 v59, v16, v11
	v_sub_f16_e32 v41, v15, v9
	v_add_f16_e32 v58, v13, v17
	v_sub_f16_e32 v42, v12, v8
	v_add_f16_e32 v57, v7, v14
	ds_store_2addr_b32 v166, v18, v22 offset1:4
	ds_store_2addr_b32 v166, v28, v31 offset0:8 offset1:12
	ds_store_2addr_b32 v166, v23, v25 offset0:16 offset1:20
	ds_store_b32 v166, v29 offset:96
	v_lshlrev_b32_e32 v170, 2, v20
	v_pack_b32_f16 v18, v72, v73
	v_pack_b32_f16 v20, v71, v76
	v_lshrrev_b32_e32 v25, 2, v45
	v_pack_b32_f16 v22, v77, v83
	v_pack_b32_f16 v23, v84, v85
	;; [unrolled: 1-line block ×5, first 2 shown]
	scratch_store_b32 off, v25, off offset:24 ; 4-byte Folded Spill
	ds_store_2addr_b32 v170, v18, v20 offset1:4
	ds_store_2addr_b32 v170, v22, v23 offset0:8 offset1:12
	ds_store_2addr_b32 v170, v21, v19 offset0:16 offset1:20
	ds_store_b32 v170, v24 offset:96
	s_and_saveexec_b32 s0, s1
	s_cbranch_execz .LBB0_11
; %bb.10:
	v_lshrrev_b32_e32 v18, 2, v45
	v_sub_f16_e32 v7, v14, v7
	v_add_f16_e32 v8, v8, v12
	v_add_f16_e32 v11, v11, v16
	v_sub_f16_e32 v13, v17, v13
	v_mul_u32_u24_e32 v18, 28, v18
	v_add_f16_e32 v9, v9, v15
	v_sub_f16_e32 v6, v10, v6
	v_perm_b32 v4, v5, v4, 0x5040100
	v_pack_b32_f16 v5, v8, v7
	v_or_b32_e32 v12, v18, v159
	v_pack_b32_f16 v8, v9, v13
	v_pack_b32_f16 v6, v6, v11
	v_perm_b32 v9, v59, v40, 0x5040100
	v_perm_b32 v10, v58, v41, 0x5040100
	v_lshlrev_b32_e32 v7, 2, v12
	v_perm_b32 v11, v57, v42, 0x5040100
	ds_store_2addr_b32 v7, v4, v5 offset1:4
	ds_store_2addr_b32 v7, v8, v6 offset0:8 offset1:12
	ds_store_2addr_b32 v7, v9, v10 offset0:16 offset1:20
	ds_store_b32 v7, v11 offset:96
.LBB0_11:
	s_wait_alu 0xfffe
	s_or_b32 exec_lo, exec_lo, s0
	v_lshrrev_b16 v4, 2, v146
	v_lshrrev_b16 v5, 2, v43
	;; [unrolled: 1-line block ×3, first 2 shown]
	global_wb scope:SCOPE_SE
	s_wait_storecnt_dscnt 0x0
	s_barrier_signal -1
	v_and_b32_e32 v4, 0xffff, v4
	v_and_b32_e32 v5, 0xffff, v5
	;; [unrolled: 1-line block ×3, first 2 shown]
	s_barrier_wait -1
	global_inv scope:SCOPE_SE
	v_mul_u32_u24_e32 v4, 0x4925, v4
	v_mul_u32_u24_e32 v5, 0x4925, v5
	;; [unrolled: 1-line block ×3, first 2 shown]
	s_delay_alu instid0(VALU_DEP_3) | instskip(SKIP_1) | instid1(VALU_DEP_4)
	v_lshrrev_b32_e32 v23, 17, v4
	v_lshrrev_b16 v4, 2, v45
	v_lshrrev_b32_e32 v25, 17, v5
	s_delay_alu instid0(VALU_DEP_4)
	v_lshrrev_b32_e32 v22, 17, v6
	v_lshrrev_b16 v5, 2, v35
	v_mul_lo_u16 v6, v23, 28
	v_and_b32_e32 v4, 0xffff, v4
	v_mul_lo_u16 v7, v25, 28
	v_mul_lo_u16 v8, v22, 28
	v_and_b32_e32 v5, 0xffff, v5
	v_sub_nc_u16 v46, v146, v6
	v_mul_u32_u24_e32 v4, 0x4925, v4
	v_sub_nc_u16 v30, v43, v7
	v_sub_nc_u16 v29, v44, v8
	v_mul_u32_u24_e32 v5, 0x4925, v5
	v_lshlrev_b16 v6, 4, v46
	v_lshrrev_b32_e32 v27, 17, v4
	v_lshlrev_b16 v4, 4, v30
	v_lshlrev_b16 v7, 4, v29
	v_lshrrev_b32_e32 v24, 17, v5
	v_and_b32_e32 v5, 0xffff, v6
	v_mul_lo_u16 v6, v27, 28
	v_and_b32_e32 v8, 0xffff, v4
	v_and_b32_e32 v7, 0xffff, v7
	v_mad_u16 v23, 0x8c, v23, v46
	v_add_co_u32 v4, s0, s2, v5
	v_sub_nc_u16 v28, v45, v6
	v_mul_lo_u16 v6, v24, 28
	s_wait_alu 0xf1ff
	v_add_co_ci_u32_e64 v5, null, s3, 0, s0
	v_add_co_u32 v8, s0, s2, v8
	s_delay_alu instid0(VALU_DEP_3)
	v_sub_nc_u16 v26, v35, v6
	v_lshlrev_b16 v12, 4, v28
	s_wait_alu 0xf1ff
	v_add_co_ci_u32_e64 v9, null, s3, 0, s0
	v_add_co_u32 v10, s0, s2, v7
	v_lshlrev_b16 v13, 4, v26
	s_wait_alu 0xf1ff
	v_add_co_ci_u32_e64 v11, null, s3, 0, s0
	v_and_b32_e32 v12, 0xffff, v12
	s_clause 0x2
	global_load_b128 v[4:7], v[4:5], off offset:96
	global_load_b128 v[32:35], v[8:9], off offset:96
	;; [unrolled: 1-line block ×3, first 2 shown]
	v_and_b32_e32 v10, 0xffff, v13
	v_and_b32_e32 v23, 0xffff, v23
	v_mad_u16 v25, 0x8c, v25, v30
	v_add_co_u32 v8, s0, s2, v12
	s_wait_alu 0xf1ff
	v_add_co_ci_u32_e64 v9, null, s3, 0, s0
	v_add_co_u32 v10, s0, s2, v10
	s_wait_alu 0xf1ff
	v_add_co_ci_u32_e64 v11, null, s3, 0, s0
	s_clause 0x1
	global_load_b128 v[12:15], v[8:9], off offset:96
	global_load_b128 v[8:11], v[10:11], off offset:96
	ds_load_2addr_stride64_b32 v[20:21], v107 offset1:7
	ds_load_2addr_stride64_b32 v[38:39], v107 offset0:28 offset1:35
	ds_load_2addr_stride64_b32 v[53:54], v107 offset0:70 offset1:77
	;; [unrolled: 1-line block ×11, first 2 shown]
	ds_load_b32 v76, v107 offset:43008
	v_and_b32_e32 v25, 0xffff, v25
	global_wb scope:SCOPE_SE
	s_wait_loadcnt_dscnt 0x0
	s_barrier_signal -1
	s_barrier_wait -1
	global_inv scope:SCOPE_SE
	v_mad_u16 v22, 0x8c, v22, v29
	v_mad_u16 v24, 0x8c, v24, v26
	v_lshrrev_b32_e32 v48, 16, v20
	v_lshrrev_b32_e32 v77, 16, v39
	;; [unrolled: 1-line block ×25, first 2 shown]
	v_and_b32_e32 v22, 0xffff, v22
	v_cmp_gt_u16_e64 s0, 0xfc, v146
	v_lshrrev_b32_e32 v165, 16, v4
	v_lshrrev_b32_e32 v171, 16, v5
	;; [unrolled: 1-line block ×12, first 2 shown]
	v_mul_f16_e64 v102, v77, v165
	v_mul_f16_e64 v104, v39, v165
	;; [unrolled: 1-line block ×3, first 2 shown]
	v_lshrrev_b32_e32 v179, 16, v12
	v_lshrrev_b32_e32 v176, 16, v8
	v_mul_f16_e64 v110, v53, v171
	v_mul_f16_e64 v111, v84, v168
	;; [unrolled: 1-line block ×7, first 2 shown]
	v_lshrrev_b32_e32 v182, 16, v13
	v_lshrrev_b32_e32 v178, 16, v14
	;; [unrolled: 1-line block ×6, first 2 shown]
	v_mul_f16_e64 v114, v56, v168
	v_mul_f16_e64 v118, v62, v167
	;; [unrolled: 1-line block ×13, first 2 shown]
	v_fma_f16 v102, v39, v4, -v102
	v_fmac_f16_e32 v104, v77, v4
	v_fma_f16 v77, v53, v5, -v106
	v_fmac_f16_e32 v110, v83, v5
	v_fma_f16 v56, v56, v6, -v111
	v_fma_f16 v83, v62, v7, -v115
	v_fmac_f16_e64 v138, v90, v16
	v_fmac_f16_e64 v143, v91, v17
	;; [unrolled: 1-line block ×4, first 2 shown]
	v_mul_f16_e64 v126, v54, v192
	v_mul_f16_e64 v130, v66, v191
	;; [unrolled: 1-line block ×14, first 2 shown]
	v_fmac_f16_e32 v114, v84, v6
	v_fmac_f16_e32 v118, v85, v7
	v_fma_f16 v62, v64, v32, -v120
	v_fmac_f16_e32 v122, v86, v32
	v_fma_f16 v64, v54, v33, -v123
	v_fma_f16 v66, v66, v34, -v128
	;; [unrolled: 1-line block ×9, first 2 shown]
	v_add_f16_e32 v73, v20, v102
	v_sub_f16_e32 v85, v102, v77
	v_sub_f16_e32 v86, v83, v56
	v_add_f16_e32 v90, v48, v104
	v_add_f16_e64 v204, v143, v147
	v_add_f16_e64 v208, v138, v157
	v_mul_f16_e64 v163, v96, v178
	v_mul_f16_e64 v169, v97, v180
	;; [unrolled: 1-line block ×3, first 2 shown]
	v_fmac_f16_e32 v126, v87, v33
	v_fmac_f16_e64 v130, v88, v34
	v_fmac_f16_e64 v134, v89, v35
	;; [unrolled: 1-line block ×3, first 2 shown]
	v_fma_f16 v69, v69, v13, -v161
	v_fmac_f16_e64 v162, v95, v13
	v_fmac_f16_e64 v164, v96, v14
	;; [unrolled: 1-line block ×3, first 2 shown]
	v_fma_f16 v39, v55, v9, -v199
	v_fmac_f16_e32 v50, v99, v9
	v_fma_f16 v53, v75, v10, -v200
	v_fmac_f16_e32 v51, v100, v10
	v_fma_f16 v55, v76, v11, -v201
	v_add_f16_e32 v75, v77, v56
	v_sub_f16_e32 v76, v104, v118
	v_sub_f16_e32 v84, v110, v114
	v_add_f16_e32 v87, v102, v83
	v_sub_f16_e32 v88, v77, v102
	v_sub_f16_e32 v89, v56, v83
	;; [unrolled: 3-line block ×3, first 2 shown]
	v_sub_f16_e32 v95, v118, v114
	v_add_f16_e32 v96, v104, v118
	v_sub_f16_e32 v97, v110, v104
	v_add_f16_e32 v99, v21, v62
	v_add_f16_e32 v100, v64, v66
	v_sub_f16_e32 v104, v62, v64
	v_sub_f16_e32 v106, v63, v66
	v_add_f16_e32 v111, v62, v63
	v_sub_f16_e32 v115, v64, v62
	v_sub_f16_e32 v120, v66, v63
	v_add_f16_e32 v123, v47, v122
	v_add_f16_e64 v158, v36, v65
	v_add_f16_e64 v161, v68, v67
	;; [unrolled: 1-line block ×4, first 2 shown]
	v_sub_f16_e64 v205, v68, v67
	v_add_f16_e64 v210, v37, v72
	v_add_f16_e32 v73, v73, v77
	v_add_f16_e32 v77, v85, v86
	;; [unrolled: 1-line block ×3, first 2 shown]
	v_fma_f16 v110, -0.5, v204, v31
	v_fmac_f16_e64 v31, -0.5, v208
	v_fma_f16 v74, v74, v14, -v163
	v_fmac_f16_e32 v49, v98, v8
	v_sub_f16_e32 v92, v102, v83
	v_sub_f16_e32 v98, v114, v118
	v_sub_f16_e64 v102, v126, v130
	v_add_f16_e64 v128, v126, v130
	v_sub_f16_e64 v132, v62, v63
	v_sub_f16_e64 v136, v64, v66
	v_sub_f16_e32 v62, v122, v126
	v_sub_f16_e64 v140, v134, v130
	v_sub_f16_e64 v198, v65, v68
	v_sub_f16_e64 v201, v68, v65
	v_sub_f16_e32 v65, v65, v70
	v_add_f16_e64 v219, v61, v160
	v_fma_f16 v75, -0.5, v75, v20
	v_fma_f16 v20, -0.5, v87, v20
	v_add_f16_e32 v85, v88, v89
	v_fma_f16 v87, -0.5, v91, v48
	v_add_f16_e32 v88, v94, v95
	v_fmac_f16_e32 v48, -0.5, v96
	v_add_f16_e32 v64, v99, v64
	v_fma_f16 v90, -0.5, v100, v21
	v_add_f16_e32 v91, v104, v106
	v_fmac_f16_e32 v21, -0.5, v111
	v_add_f16_e32 v94, v115, v120
	v_add_f16_e32 v95, v123, v126
	v_add_f16_e64 v68, v158, v68
	v_fma_f16 v99, -0.5, v161, v36
	v_fma_f16 v104, -0.5, v200, v36
	v_add_f16_e64 v36, v203, v143
	v_add_f16_e64 v120, v210, v69
	v_fma_f16 v158, 0x3b9c, v205, v31
	v_fmac_f16_e64 v31, 0xbb9c, v205
	v_fma_f16 v71, v71, v15, -v169
	v_fmac_f16_e32 v52, v101, v11
	v_sub_f16_e64 v101, v122, v134
	v_sub_f16_e64 v163, v138, v157
	;; [unrolled: 1-line block ×9, first 2 shown]
	v_add_f16_e64 v220, v162, v164
	v_add_f16_e32 v89, v97, v98
	v_fma_f16 v96, -0.5, v128, v47
	v_add_f16_e64 v97, v62, v140
	v_add_f16_e32 v56, v73, v56
	v_fmamk_f16 v73, v76, 0x3b9c, v75
	v_fmac_f16_e32 v75, 0xbb9c, v76
	v_add_f16_e32 v86, v86, v114
	v_fmamk_f16 v114, v92, 0xbb9c, v87
	v_fmac_f16_e32 v87, 0x3b9c, v92
	v_fma_f16 v128, 0x3b9c, v93, v48
	v_fmac_f16_e32 v48, 0xbb9c, v93
	v_add_f16_e32 v66, v64, v66
	v_fma_f16 v140, 0xbb9c, v102, v21
	v_fmac_f16_e32 v21, 0x3b9c, v102
	v_add_f16_e64 v95, v95, v130
	v_add_f16_e32 v67, v68, v67
	v_add_f16_e64 v68, v36, v147
	v_fma_f16 v147, 0xbb9c, v65, v110
	v_fmac_f16_e32 v110, 0x3b9c, v65
	v_add_f16_e32 v120, v120, v74
	v_fmac_f16_e64 v158, 0xb8b4, v65
	v_fmac_f16_e32 v31, 0x38b4, v65
	v_add_f16_e64 v65, v219, v162
	v_sub_f16_e64 v214, v72, v69
	v_sub_f16_e64 v215, v71, v74
	v_add_f16_e64 v216, v72, v71
	v_sub_f16_e64 v217, v69, v72
	v_sub_f16_e64 v218, v74, v71
	v_add_f16_e64 v115, v138, v209
	v_fma_f16 v138, 0x3b9c, v101, v90
	v_fmac_f16_e32 v90, 0xbb9c, v101
	v_fmac_f16_e32 v73, 0x38b4, v84
	;; [unrolled: 1-line block ×5, first 2 shown]
	v_fmac_f16_e64 v128, 0xb8b4, v92
	v_fmac_f16_e32 v48, 0x38b4, v92
	v_add_f16_e32 v63, v66, v63
	v_fmac_f16_e64 v140, 0x38b4, v101
	v_fmac_f16_e32 v21, 0xb8b4, v101
	v_add_f16_e64 v92, v95, v134
	v_add_f16_e32 v93, v67, v70
	v_add_f16_e64 v95, v68, v157
	v_add_f16_e32 v101, v120, v71
	v_fma_f16 v66, -0.5, v220, v61
	v_sub_f16_e32 v68, v72, v71
	v_add_f16_e64 v67, v65, v164
	v_add_f16_e64 v70, v160, v196
	v_sub_f16_e64 v71, v160, v162
	v_sub_f16_e64 v72, v196, v164
	v_add_f16_e64 v144, v122, v134
	v_sub_f16_e32 v122, v126, v122
	v_add_f16_e64 v211, v69, v74
	v_fmamk_f16 v126, v84, 0xbb9c, v20
	v_fmac_f16_e32 v20, 0x3b9c, v84
	v_fmac_f16_e32 v73, 0x34f2, v77
	;; [unrolled: 1-line block ×3, first 2 shown]
	v_fmamk_f16 v65, v68, 0xbb9c, v66
	v_sub_f16_e32 v69, v69, v74
	v_fmac_f16_e32 v61, -0.5, v70
	v_add_f16_e64 v74, v67, v196
	v_add_f16_e32 v70, v71, v72
	v_fmac_f16_e32 v66, 0x3b9c, v68
	v_sub_f16_e64 v67, v162, v160
	v_sub_f16_e64 v72, v164, v196
	v_add_f16_e32 v77, v39, v53
	v_fmac_f16_e32 v126, 0x38b4, v76
	v_fmac_f16_e32 v20, 0xb8b4, v76
	;; [unrolled: 1-line block ×3, first 2 shown]
	v_fmamk_f16 v71, v69, 0x3b9c, v61
	v_fmac_f16_e32 v66, 0x38b4, v69
	v_add_f16_e32 v72, v67, v72
	v_fmac_f16_e32 v61, 0xbb9c, v69
	v_fma_f16 v67, -0.5, v77, v38
	v_sub_f16_e32 v77, v49, v52
	v_add_f16_e32 v56, v56, v83
	v_fmac_f16_e32 v126, 0x34f2, v85
	v_fmac_f16_e32 v20, 0x34f2, v85
	;; [unrolled: 1-line block ×6, first 2 shown]
	v_fmamk_f16 v68, v77, 0x3b9c, v67
	v_sub_f16_e32 v83, v50, v51
	v_sub_f16_e32 v70, v54, v39
	;; [unrolled: 1-line block ×3, first 2 shown]
	v_fmac_f16_e32 v67, 0xbb9c, v77
	v_add_f16_e32 v85, v54, v55
	v_add_f16_e32 v69, v38, v54
	v_fmac_f16_e32 v68, 0x38b4, v83
	v_add_f16_e32 v70, v70, v84
	v_fmac_f16_e32 v67, 0xb8b4, v83
	v_fmac_f16_e32 v38, -0.5, v85
	v_add_f16_e32 v69, v69, v39
	v_add_f16_e32 v84, v50, v51
	v_fmac_f16_e32 v68, 0x34f2, v70
	v_fmac_f16_e32 v67, 0x34f2, v70
	v_fmamk_f16 v70, v83, 0xbb9c, v38
	v_fmac_f16_e32 v38, 0x3b9c, v83
	v_add_f16_e32 v76, v86, v118
	v_fmac_f16_e32 v71, 0x34f2, v72
	v_add_f16_e32 v69, v69, v53
	v_fmac_f16_e32 v70, 0x38b4, v77
	v_fmac_f16_e32 v38, 0xb8b4, v77
	v_add_f16_e32 v77, v49, v52
	v_fmac_f16_e32 v61, 0x34f2, v72
	v_add_f16_e32 v72, v60, v49
	v_sub_f16_e32 v85, v39, v54
	v_sub_f16_e32 v86, v53, v55
	v_fma_f16 v83, -0.5, v84, v60
	v_sub_f16_e32 v54, v54, v55
	v_sub_f16_e32 v39, v39, v53
	v_fmac_f16_e32 v60, -0.5, v77
	v_sub_f16_e64 v148, v130, v134
	v_fma_f16 v130, 0xbb9c, v132, v96
	v_add_f16_e32 v69, v69, v55
	v_add_f16_e32 v72, v72, v50
	;; [unrolled: 1-line block ×3, first 2 shown]
	v_fmamk_f16 v84, v54, 0xbb9c, v83
	v_sub_f16_e32 v53, v49, v50
	v_fmac_f16_e32 v83, 0x3b9c, v54
	v_fmamk_f16 v85, v39, 0x3b9c, v60
	v_sub_f16_e32 v49, v50, v49
	v_sub_f16_e32 v50, v51, v52
	v_fmac_f16_e32 v60, 0xbb9c, v39
	v_fmac_f16_e64 v47, -0.5, v144
	v_fmac_f16_e64 v138, 0x38b4, v102
	v_fmac_f16_e64 v130, 0xb8b4, v136
	v_fmac_f16_e32 v114, 0x34f2, v88
	v_fmac_f16_e64 v128, 0x34f2, v89
	v_fmac_f16_e32 v48, 0x34f2, v89
	v_fmac_f16_e32 v84, 0xb8b4, v39
	;; [unrolled: 1-line block ×4, first 2 shown]
	v_add_f16_e32 v39, v49, v50
	v_fmac_f16_e32 v60, 0x38b4, v54
	v_fma_f16 v143, 0x3b9c, v136, v47
	v_fmac_f16_e64 v47, 0xbb9c, v136
	v_fmac_f16_e32 v87, 0x34f2, v88
	v_fmac_f16_e64 v96, 0x3b9c, v132
	v_sub_f16_e64 v212, v160, v196
	v_sub_f16_e64 v213, v162, v164
	v_fma_f16 v62, -0.5, v211, v37
	v_fmac_f16_e64 v138, 0x34f2, v91
	v_fmac_f16_e64 v130, 0x34f2, v97
	v_lshlrev_b32_e32 v164, 2, v23
	v_pack_b32_f16 v23, v56, v76
	v_pack_b32_f16 v30, v73, v114
	v_fmac_f16_e32 v85, 0x34f2, v39
	v_fmac_f16_e32 v60, 0x34f2, v39
	v_pack_b32_f16 v39, v126, v128
	v_pack_b32_f16 v20, v20, v48
	v_add_f16_e64 v98, v122, v148
	v_fma_f16 v144, 0x3b9c, v163, v99
	v_fmac_f16_e64 v143, 0xb8b4, v132
	v_fmac_f16_e64 v47, 0x38b4, v132
	v_pack_b32_f16 v46, v75, v87
	v_fma_f16 v148, 0xbb9c, v169, v104
	v_fmac_f16_e64 v104, 0x3b9c, v169
	v_fmac_f16_e32 v90, 0xb8b4, v102
	v_fmac_f16_e64 v96, 0x38b4, v136
	v_fmac_f16_e64 v99, 0xbb9c, v163
	v_fmac_f16_e64 v37, -0.5, v216
	v_fma_f16 v36, 0x3b9c, v212, v62
	ds_store_2addr_b32 v164, v23, v30 offset1:28
	ds_store_2addr_b32 v164, v39, v20 offset0:56 offset1:84
	ds_store_b32 v164, v46 offset:448
	v_lshlrev_b32_e32 v160, 2, v25
	v_pack_b32_f16 v20, v63, v92
	v_pack_b32_f16 v23, v138, v130
	v_add_f16_e64 v100, v198, v199
	v_add_f16_e64 v111, v206, v207
	v_fmac_f16_e64 v144, 0x38b4, v169
	v_fmac_f16_e64 v147, 0xb8b4, v205
	;; [unrolled: 1-line block ×3, first 2 shown]
	v_fmac_f16_e32 v21, 0x34f2, v94
	v_fmac_f16_e64 v143, 0x34f2, v98
	v_fmac_f16_e32 v47, 0x34f2, v98
	v_add_f16_e64 v106, v201, v202
	v_fmac_f16_e64 v148, 0x38b4, v163
	v_fmac_f16_e64 v104, 0xb8b4, v163
	v_fmac_f16_e32 v90, 0x34f2, v91
	v_fmac_f16_e32 v96, 0x34f2, v97
	v_fmac_f16_e64 v99, 0xb8b4, v169
	v_fmac_f16_e64 v110, 0x38b4, v205
	v_add_f16_e64 v122, v214, v215
	v_fma_f16 v64, 0xbb9c, v213, v37
	v_fmac_f16_e64 v37, 0x3b9c, v213
	v_fmac_f16_e64 v36, 0x38b4, v213
	ds_store_2addr_b32 v160, v20, v23 offset1:28
	v_mad_u16 v20, 0x8c, v27, v28
	v_fmac_f16_e64 v62, 0xbb9c, v212
	v_fmac_f16_e64 v144, 0x34f2, v100
	;; [unrolled: 1-line block ×3, first 2 shown]
	v_fmac_f16_e32 v70, 0x34f2, v55
	v_fmac_f16_e32 v38, 0x34f2, v55
	v_sub_f16_e32 v55, v52, v51
	v_pack_b32_f16 v25, v140, v143
	v_pack_b32_f16 v21, v21, v47
	v_fmac_f16_e64 v148, 0x34f2, v106
	v_fmac_f16_e32 v104, 0x34f2, v106
	v_fmac_f16_e64 v158, 0x34f2, v115
	v_fmac_f16_e32 v31, 0x34f2, v115
	v_pack_b32_f16 v29, v90, v96
	v_fmac_f16_e32 v99, 0x34f2, v100
	v_fmac_f16_e32 v110, 0x34f2, v111
	v_add_f16_e64 v123, v217, v218
	v_fmac_f16_e64 v64, 0x38b4, v212
	v_fmac_f16_e32 v36, 0x34f2, v122
	v_fmac_f16_e64 v37, 0xb8b4, v212
	v_and_b32_e32 v20, 0xffff, v20
	v_fmac_f16_e64 v62, 0xb8b4, v213
	v_add_f16_e32 v72, v72, v51
	v_add_f16_e32 v51, v53, v55
	ds_store_2addr_b32 v160, v25, v21 offset0:56 offset1:84
	ds_store_b32 v160, v29 offset:448
	v_lshlrev_b32_e32 v163, 2, v22
	v_pack_b32_f16 v21, v93, v95
	v_pack_b32_f16 v22, v144, v147
	v_pack_b32_f16 v23, v148, v158
	v_pack_b32_f16 v25, v104, v31
	v_pack_b32_f16 v27, v99, v110
	v_fmac_f16_e32 v64, 0x34f2, v123
	v_fmac_f16_e32 v37, 0x34f2, v123
	v_lshlrev_b32_e32 v161, 2, v20
	v_pack_b32_f16 v20, v101, v74
	v_pack_b32_f16 v26, v36, v65
	v_fmac_f16_e32 v62, 0x34f2, v122
	v_add_f16_e32 v86, v72, v52
	v_fmac_f16_e32 v84, 0x34f2, v51
	ds_store_2addr_b32 v163, v21, v22 offset1:28
	ds_store_2addr_b32 v163, v23, v25 offset0:56 offset1:84
	ds_store_b32 v163, v27 offset:448
	v_and_b32_e32 v21, 0xffff, v24
	v_fmac_f16_e32 v83, 0x34f2, v51
	ds_store_2addr_b32 v161, v20, v26 offset1:28
	v_pack_b32_f16 v20, v64, v71
	v_pack_b32_f16 v22, v37, v61
	;; [unrolled: 1-line block ×3, first 2 shown]
	v_lshlrev_b32_e32 v162, 2, v21
	v_pack_b32_f16 v21, v69, v86
	v_pack_b32_f16 v24, v68, v84
	;; [unrolled: 1-line block ×5, first 2 shown]
	ds_store_2addr_b32 v161, v20, v22 offset0:56 offset1:84
	ds_store_b32 v161, v23 offset:448
	ds_store_2addr_b32 v162, v21, v24 offset1:28
	ds_store_2addr_b32 v162, v25, v26 offset0:56 offset1:84
	ds_store_b32 v162, v27 offset:448
	global_wb scope:SCOPE_SE
	s_wait_dscnt 0x0
	s_barrier_signal -1
	s_barrier_wait -1
	global_inv scope:SCOPE_SE
	ds_load_b32 v54, v107 offset:2800
	ds_load_b32 v53, v107 offset:5600
	;; [unrolled: 1-line block ×14, first 2 shown]
	ds_load_b32 v95, v107
	ds_load_b32 v20, v107 offset:42000
	v_lshlrev_b32_e32 v39, 2, v43
	v_lshlrev_b32_e32 v56, 2, v44
	v_lshlrev_b32_e32 v63, 2, v45
                                        ; implicit-def: $vgpr87
                                        ; implicit-def: $vgpr91
                                        ; implicit-def: $vgpr88
                                        ; implicit-def: $vgpr92
                                        ; implicit-def: $vgpr89
                                        ; implicit-def: $vgpr93
                                        ; implicit-def: $vgpr90
                                        ; implicit-def: $vgpr94
	s_and_saveexec_b32 s10, s0
	s_cbranch_execz .LBB0_13
; %bb.12:
	ds_load_b32 v36, v107 offset:1792
	ds_load_b32 v64, v107 offset:4592
	;; [unrolled: 1-line block ×16, first 2 shown]
	s_wait_dscnt 0xf
	v_lshrrev_b32_e32 v65, 16, v36
	s_wait_dscnt 0xe
	v_lshrrev_b32_e32 v71, 16, v64
	;; [unrolled: 2-line block ×16, first 2 shown]
.LBB0_13:
	s_wait_alu 0xfffe
	s_or_b32 exec_lo, exec_lo, s10
	v_and_b32_e32 v44, 0xffff, v43
	s_wait_dscnt 0xf
	v_lshrrev_b32_e32 v55, 16, v54
	s_delay_alu instid0(VALU_DEP_2) | instskip(NEXT) | instid1(VALU_DEP_1)
	v_mul_u32_u24_e32 v44, 0xea0f, v44
	v_lshrrev_b32_e32 v44, 23, v44
	scratch_store_b32 off, v44, off offset:4 ; 4-byte Folded Spill
	v_mul_lo_u16 v44, 0x8c, v44
	s_delay_alu instid0(VALU_DEP_1) | instskip(SKIP_1) | instid1(VALU_DEP_1)
	v_sub_nc_u16 v158, v43, v44
	v_mul_u32_u24_e32 v43, 0xea0f, v146
	v_lshrrev_b32_e32 v43, 23, v43
	s_delay_alu instid0(VALU_DEP_1) | instskip(NEXT) | instid1(VALU_DEP_1)
	v_mul_lo_u16 v44, 0x8c, v43
	v_sub_nc_u16 v44, v146, v44
	s_delay_alu instid0(VALU_DEP_1) | instskip(SKIP_1) | instid1(VALU_DEP_1)
	v_mad_u16 v43, 0x8c0, v43, v44
	v_mul_lo_u16 v44, v44, 60
	v_and_b32_e32 v44, 0xffff, v44
	s_delay_alu instid0(VALU_DEP_1)
	v_add_co_u32 v72, s10, s2, v44
	s_wait_alu 0xf1ff
	v_add_co_ci_u32_e64 v73, null, s3, 0, s10
	s_clause 0x1
	global_load_b128 v[48:51], v[72:73], off offset:544
	global_load_b128 v[44:47], v[72:73], off offset:560
	s_wait_loadcnt 0x1
	v_lshrrev_b32_e32 v226, 16, v48
	v_lshrrev_b32_e32 v227, 16, v49
	;; [unrolled: 1-line block ×4, first 2 shown]
	s_wait_loadcnt 0x0
	v_lshrrev_b32_e32 v224, 16, v44
	v_mul_f16_e64 v74, v55, v226
	v_mul_f16_e64 v97, v54, v226
	s_wait_dscnt 0xe
	v_mul_f16_e64 v99, v53, v227
	s_wait_dscnt 0xd
	;; [unrolled: 2-line block ×3, first 2 shown]
	v_mul_f16_e64 v104, v31, v223
	v_fma_f16 v96, v54, v48, -v74
	v_lshrrev_b32_e32 v54, 16, v53
	v_fmac_f16_e32 v97, v55, v48
	s_wait_dscnt 0xb
	v_mul_f16_e64 v110, v30, v224
	v_lshrrev_b32_e32 v221, 16, v45
	v_lshrrev_b32_e32 v222, 16, v46
	v_mul_f16_e64 v55, v54, v227
	v_fmac_f16_e32 v99, v54, v49
	v_lshrrev_b32_e32 v220, 16, v47
	s_wait_dscnt 0xa
	v_mul_f16_e64 v114, v29, v221
	s_wait_dscnt 0x9
	v_mul_f16_e64 v118, v28, v222
	v_fma_f16 v98, v53, v49, -v55
	v_lshrrev_b32_e32 v53, 16, v52
	s_wait_dscnt 0x8
	v_mul_f16_e64 v122, v27, v220
	s_delay_alu instid0(VALU_DEP_2) | instskip(SKIP_1) | instid1(VALU_DEP_2)
	v_mul_f16_e64 v54, v53, v225
	v_fmac_f16_e32 v101, v53, v50
	v_fma_f16 v100, v52, v50, -v54
	v_lshrrev_b32_e32 v52, 16, v31
	s_delay_alu instid0(VALU_DEP_1) | instskip(SKIP_1) | instid1(VALU_DEP_2)
	v_mul_f16_e64 v53, v52, v223
	v_fmac_f16_e32 v104, v52, v51
	v_fma_f16 v102, v31, v51, -v53
	v_lshrrev_b32_e32 v31, 16, v30
	s_delay_alu instid0(VALU_DEP_1) | instskip(SKIP_1) | instid1(VALU_DEP_2)
	v_mul_f16_e64 v52, v31, v224
	v_fmac_f16_e32 v110, v31, v44
	v_fma_f16 v106, v30, v44, -v52
	s_clause 0x1
	global_load_b96 v[75:77], v[72:73], off offset:592
	global_load_b128 v[52:55], v[72:73], off offset:576
	v_lshrrev_b32_e32 v30, 16, v29
	s_delay_alu instid0(VALU_DEP_1) | instskip(SKIP_1) | instid1(VALU_DEP_2)
	v_mul_f16_e64 v31, v30, v221
	v_fmac_f16_e32 v114, v30, v45
	v_fma_f16 v111, v29, v45, -v31
	v_lshrrev_b32_e32 v29, 16, v28
	s_delay_alu instid0(VALU_DEP_1) | instskip(SKIP_1) | instid1(VALU_DEP_2)
	v_mul_f16_e64 v30, v29, v222
	v_fmac_f16_e32 v118, v29, v46
	v_fma_f16 v115, v28, v46, -v30
	;; [unrolled: 5-line block ×3, first 2 shown]
	s_wait_dscnt 0x7
	v_lshrrev_b32_e32 v27, 16, v26
	s_wait_loadcnt 0x1
	v_lshrrev_b32_e32 v231, 16, v75
	s_wait_loadcnt 0x0
	v_lshrrev_b32_e32 v234, 16, v52
	v_lshrrev_b32_e32 v235, 16, v53
	v_lshrrev_b32_e32 v232, 16, v54
	v_lshrrev_b32_e32 v233, 16, v55
	s_wait_dscnt 0x3
	v_mul_f16_e64 v143, v22, v231
	v_mul_f16_e64 v28, v27, v234
	;; [unrolled: 1-line block ×6, first 2 shown]
	v_fma_f16 v123, v26, v52, -v28
	v_lshrrev_b32_e32 v26, 16, v25
	v_fmac_f16_e32 v126, v27, v52
	v_lshrrev_b32_e32 v229, 16, v76
	v_lshrrev_b32_e32 v230, 16, v77
	v_sub_f16_e32 v123, v96, v123
	v_mul_f16_e64 v27, v26, v235
	v_fmac_f16_e64 v130, v26, v53
	s_wait_dscnt 0x2
	v_mul_f16_e64 v147, v21, v229
	s_wait_dscnt 0x0
	v_mul_f16_e64 v157, v20, v230
	v_sub_f16_e32 v126, v97, v126
	v_fma_f16 v128, v25, v53, -v27
	v_lshrrev_b32_e32 v25, 16, v24
	v_sub_f16_e64 v130, v99, v130
	v_fma_f16 v96, v96, 2.0, -v123
	v_fma_f16 v97, v97, 2.0, -v126
	v_sub_f16_e64 v128, v98, v128
	v_mul_f16_e64 v26, v25, v232
	v_fmac_f16_e64 v134, v25, v54
	v_fma_f16 v99, v99, 2.0, -v130
	s_delay_alu instid0(VALU_DEP_4) | instskip(NEXT) | instid1(VALU_DEP_4)
	v_fma_f16 v98, v98, 2.0, -v128
	v_fma_f16 v132, v24, v54, -v26
	v_lshrrev_b32_e32 v24, 16, v23
	v_sub_f16_e64 v134, v101, v134
	s_delay_alu instid0(VALU_DEP_3) | instskip(NEXT) | instid1(VALU_DEP_3)
	v_sub_f16_e64 v132, v100, v132
	v_mul_f16_e64 v25, v24, v233
	v_fmac_f16_e64 v138, v24, v55
	s_delay_alu instid0(VALU_DEP_4) | instskip(NEXT) | instid1(VALU_DEP_4)
	v_fma_f16 v101, v101, 2.0, -v134
	v_fma_f16 v100, v100, 2.0, -v132
	s_delay_alu instid0(VALU_DEP_4) | instskip(SKIP_2) | instid1(VALU_DEP_3)
	v_fma_f16 v136, v23, v55, -v25
	v_lshrrev_b32_e32 v23, 16, v22
	v_sub_f16_e64 v138, v104, v138
	v_sub_f16_e64 v136, v102, v136
	s_delay_alu instid0(VALU_DEP_3) | instskip(SKIP_1) | instid1(VALU_DEP_4)
	v_mul_f16_e64 v24, v23, v231
	v_fmac_f16_e64 v143, v23, v75
	v_fma_f16 v104, v104, 2.0, -v138
	s_delay_alu instid0(VALU_DEP_4) | instskip(NEXT) | instid1(VALU_DEP_4)
	v_fma_f16 v102, v102, 2.0, -v136
	v_fma_f16 v140, v22, v75, -v24
	v_lshrrev_b32_e32 v22, 16, v21
	v_sub_f16_e64 v143, v110, v143
	s_delay_alu instid0(VALU_DEP_3) | instskip(NEXT) | instid1(VALU_DEP_3)
	v_sub_f16_e64 v140, v106, v140
	v_mul_f16_e64 v23, v22, v229
	v_fmac_f16_e64 v147, v22, v76
	s_delay_alu instid0(VALU_DEP_4)
	v_fma_f16 v110, v110, 2.0, -v143
	v_sub_f16_e64 v143, v123, v143
	v_fma_f16 v106, v106, 2.0, -v140
	v_fma_f16 v144, v21, v76, -v23
	v_lshrrev_b32_e32 v21, 16, v20
	v_sub_f16_e64 v147, v114, v147
	v_add_f16_e64 v140, v126, v140
	v_sub_f16_e32 v106, v96, v106
	v_sub_f16_e64 v144, v111, v144
	v_mul_f16_e64 v22, v21, v230
	v_fmac_f16_e64 v157, v21, v77
	v_and_b32_e32 v21, 0xffff, v43
	v_sub_f16_e32 v43, v95, v120
	v_lshrrev_b32_e32 v120, 16, v95
	v_fma_f16 v148, v20, v77, -v22
	v_mul_lo_u16 v20, v158, 60
	v_lshlrev_b32_e32 v196, 2, v21
	v_sub_f16_e64 v157, v118, v157
	v_sub_f16_e32 v122, v120, v122
	v_sub_f16_e64 v148, v115, v148
	v_and_b32_e32 v20, 0xffff, v20
	v_fma_f16 v95, v95, 2.0, -v43
	v_fma_f16 v111, v111, 2.0, -v144
	;; [unrolled: 1-line block ×4, first 2 shown]
	v_add_co_u32 v28, s10, s2, v20
	s_wait_alu 0xf1ff
	v_add_co_ci_u32_e64 v29, null, s3, 0, s10
	s_clause 0x3
	global_load_b96 v[72:74], v[28:29], off offset:592
	global_load_b128 v[24:27], v[28:29], off offset:544
	global_load_b128 v[20:23], v[28:29], off offset:560
	;; [unrolled: 1-line block ×3, first 2 shown]
	v_fma_f16 v115, v115, 2.0, -v148
	v_fma_f16 v118, v118, 2.0, -v157
	v_sub_f16_e64 v138, v43, v138
	v_add_f16_e64 v136, v122, v136
	v_sub_f16_e64 v147, v128, v147
	v_add_f16_e64 v144, v130, v144
	;; [unrolled: 2-line block ×3, first 2 shown]
	v_sub_f16_e32 v102, v95, v102
	v_sub_f16_e32 v104, v120, v104
	;; [unrolled: 1-line block ×7, first 2 shown]
	v_fma_f16 v169, 0x39a8, v147, v138
	v_fma_f16 v198, 0x39a8, v144, v136
	;; [unrolled: 1-line block ×4, first 2 shown]
	v_sub_f16_e64 v201, v102, v114
	v_sub_f16_e64 v202, v106, v118
	v_add_f16_e64 v203, v110, v115
	v_add_f16_e64 v205, v104, v111
	v_fmac_f16_e64 v169, 0xb9a8, v144
	v_fmac_f16_e64 v198, 0x39a8, v147
	;; [unrolled: 1-line block ×4, first 2 shown]
	v_fma_f16 v204, 0x39a8, v202, v201
	v_fma_f16 v206, 0x39a8, v203, v205
	v_fma_f16 v43, v43, 2.0, -v138
	v_fma_f16 v207, 0x3b64, v199, v169
	v_fma_f16 v208, 0x3b64, v200, v198
	v_fmac_f16_e64 v204, 0xb9a8, v203
	v_fmac_f16_e64 v206, 0x39a8, v202
	v_fma_f16 v128, v128, 2.0, -v147
	v_fmac_f16_e64 v207, 0xb61f, v200
	v_fmac_f16_e64 v208, 0x361f, v199
	v_fma_f16 v123, v123, 2.0, -v143
	v_pack_b32_f16 v210, v204, v206
	v_fma_f16 v204, v201, 2.0, -v204
	v_fma_f16 v206, v205, 2.0, -v206
	v_pack_b32_f16 v211, v207, v208
	v_fma_f16 v201, v102, 2.0, -v201
	v_fma_f16 v132, v132, 2.0, -v157
	;; [unrolled: 1-line block ×3, first 2 shown]
	v_pack_b32_f16 v204, v204, v206
	v_fma_f16 v206, v169, 2.0, -v207
	v_fma_f16 v207, v198, 2.0, -v208
	;; [unrolled: 1-line block ×6, first 2 shown]
	v_pack_b32_f16 v206, v206, v207
	v_add_nc_u32_e32 v207, 0xc00, v196
	v_fma_f16 v97, v97, 2.0, -v110
	v_fma_f16 v100, v100, 2.0, -v115
	;; [unrolled: 1-line block ×3, first 2 shown]
	global_wb scope:SCOPE_SE
	s_wait_loadcnt 0x0
	s_wait_storecnt 0x0
	s_barrier_signal -1
	s_barrier_wait -1
	global_inv scope:SCOPE_SE
	ds_store_2addr_b32 v207, v204, v206 offset0:72 offset1:212
	v_fma_f16 v204, v104, 2.0, -v205
	v_fma_f16 v203, v110, 2.0, -v203
	;; [unrolled: 1-line block ×6, first 2 shown]
	v_fma_f16 v104, 0xb9a8, v128, v43
	v_fma_f16 v110, 0xb9a8, v132, v123
	v_sub_f16_e32 v98, v95, v98
	v_sub_f16_e32 v99, v102, v99
	;; [unrolled: 1-line block ×4, first 2 shown]
	v_fma_f16 v202, v106, 2.0, -v202
	v_fmac_f16_e64 v104, 0xb9a8, v130
	v_fma_f16 v106, 0xb9a8, v130, v122
	v_fmac_f16_e64 v110, 0xb9a8, v134
	v_fma_f16 v111, 0xb9a8, v134, v126
	v_sub_f16_e32 v118, v98, v101
	v_add_f16_e32 v120, v99, v100
	v_fmac_f16_e64 v106, 0x39a8, v128
	v_fma_f16 v95, v95, 2.0, -v98
	v_fmac_f16_e64 v111, 0x39a8, v132
	v_fma_f16 v43, v43, 2.0, -v104
	v_pack_b32_f16 v130, v118, v120
	v_fma_f16 v118, v98, 2.0, -v118
	v_fma_f16 v120, v99, 2.0, -v120
	;; [unrolled: 1-line block ×4, first 2 shown]
	v_fma_f16 v205, 0xb9a8, v202, v201
	v_fma_f16 v102, v122, 2.0, -v106
	v_fma_f16 v96, v96, 2.0, -v100
	;; [unrolled: 1-line block ×4, first 2 shown]
	v_fmamk_f16 v101, v99, 0xbb64, v43
	v_fmac_f16_e64 v205, 0xb9a8, v203
	v_fma_f16 v203, 0xb9a8, v203, v204
	v_fma_f16 v169, v138, 2.0, -v169
	v_fma_f16 v199, v143, 2.0, -v199
	v_fmamk_f16 v114, v110, 0x361f, v104
	v_fmamk_f16 v115, v111, 0x361f, v106
	v_fmac_f16_e32 v101, 0xb61f, v100
	v_fmamk_f16 v100, v100, 0xbb64, v102
	v_fmac_f16_e64 v203, 0x39a8, v202
	v_fma_f16 v198, v136, 2.0, -v198
	v_fma_f16 v200, v140, 2.0, -v200
	v_fma_f16 v202, 0xb61f, v199, v169
	v_fmac_f16_e32 v114, 0xbb64, v111
	v_fmac_f16_e32 v115, 0x3b64, v110
	;; [unrolled: 1-line block ×3, first 2 shown]
	v_sub_f16_e32 v96, v95, v96
	v_sub_f16_e32 v97, v98, v97
	v_fmac_f16_e64 v202, 0xbb64, v200
	v_fma_f16 v200, 0xb61f, v200, v198
	v_pack_b32_f16 v132, v114, v115
	v_fma_f16 v114, v104, 2.0, -v114
	v_pack_b32_f16 v104, v96, v97
	v_fma_f16 v95, v95, 2.0, -v96
	v_fma_f16 v96, v98, 2.0, -v97
	;; [unrolled: 1-line block ×4, first 2 shown]
	v_fmac_f16_e64 v200, 0x3b64, v199
	v_add_nc_u32_e32 v199, 0x1500, v196
	v_pack_b32_f16 v95, v95, v96
	v_pack_b32_f16 v206, v205, v203
	;; [unrolled: 1-line block ×4, first 2 shown]
	v_add_nc_u32_e32 v128, 0x1a00, v196
	v_fma_f16 v115, v106, 2.0, -v115
	v_add_nc_u32_e32 v99, 0x1000, v196
	ds_store_2addr_b32 v196, v95, v43 offset1:140
	ds_store_2addr_b32 v199, v206, v207 offset0:56 offset1:196
	ds_store_2addr_b32 v128, v130, v132 offset0:16 offset1:156
	v_fma_f16 v130, v204, 2.0, -v203
	v_pack_b32_f16 v106, v101, v100
	v_fma_f16 v132, v169, 2.0, -v202
	v_pack_b32_f16 v118, v118, v120
	v_pack_b32_f16 v114, v114, v115
	v_add_nc_u32_e32 v115, 0x800, v196
	ds_store_2addr_b32 v99, v104, v106 offset0:96 offset1:236
	v_fma_f16 v128, v201, 2.0, -v205
	v_fma_f16 v134, v198, 2.0, -v200
	v_add_nc_u32_e32 v209, 0x1e00, v196
	ds_store_2addr_b32 v115, v118, v114 offset0:48 offset1:188
	v_pack_b32_f16 v128, v128, v130
	v_pack_b32_f16 v130, v132, v134
	v_add_nc_u32_e32 v132, 0x400, v196
	ds_store_2addr_b32 v209, v210, v211 offset0:40 offset1:180
	ds_store_2addr_b32 v132, v128, v130 offset0:24 offset1:164
	v_lshrrev_b32_e32 v213, 16, v72
	v_lshrrev_b32_e32 v214, 16, v25
	;; [unrolled: 1-line block ×6, first 2 shown]
	v_mul_f16_e64 v43, v61, v214
	v_mul_f16_e32 v95, v60, v96
	v_mul_f16_e32 v96, v38, v96
	v_lshrrev_b32_e32 v208, 16, v28
	v_lshrrev_b32_e32 v218, 16, v21
	v_fma_f16 v43, v37, v25, -v43
	v_fma_f16 v95, v38, v22, -v95
	v_mul_f16_e32 v38, v71, v98
	v_mul_f16_e64 v37, v37, v214
	v_fmac_f16_e32 v96, v60, v22
	v_lshrrev_b32_e32 v219, 16, v29
	v_lshrrev_b32_e32 v212, 16, v30
	v_fma_f16 v97, v64, v24, -v38
	v_mul_f16_e64 v38, v66, v206
	v_fmac_f16_e32 v37, v61, v25
	v_mul_f16_e32 v64, v64, v98
	v_lshrrev_b32_e32 v228, 16, v73
	v_lshrrev_b32_e32 v215, 16, v74
	v_fma_f16 v61, v62, v26, -v38
	v_mul_f16_e64 v62, v62, v206
	v_fmac_f16_e32 v64, v71, v24
	v_mul_f16_e64 v71, v85, v218
	s_delay_alu instid0(VALU_DEP_3) | instskip(SKIP_1) | instid1(VALU_DEP_3)
	v_fmac_f16_e32 v62, v66, v26
	v_lshrrev_b32_e32 v66, 16, v27
	v_fma_f16 v71, v70, v21, -v71
	v_mul_f16_e64 v70, v70, v218
	s_delay_alu instid0(VALU_DEP_3) | instskip(SKIP_1) | instid1(VALU_DEP_3)
	v_mul_f16_e32 v38, v86, v66
	v_mul_f16_e32 v66, v69, v66
	v_fmac_f16_e32 v70, v85, v21
	v_mul_f16_e64 v85, v93, v213
	s_delay_alu instid0(VALU_DEP_4) | instskip(SKIP_2) | instid1(VALU_DEP_4)
	v_fma_f16 v38, v69, v27, -v38
	v_mul_f16_e64 v69, v84, v204
	v_fmac_f16_e32 v66, v86, v27
	v_fma_f16 v85, v89, v72, -v85
	v_mul_f16_e64 v86, v89, v213
	v_mul_f16_e64 v89, v92, v228
	v_fma_f16 v69, v68, v20, -v69
	v_mul_f16_e64 v68, v68, v204
	s_delay_alu instid0(VALU_DEP_4) | instskip(NEXT) | instid1(VALU_DEP_4)
	v_fmac_f16_e32 v86, v93, v72
	v_fma_f16 v89, v88, v73, -v89
	v_mul_f16_e64 v88, v88, v228
	s_delay_alu instid0(VALU_DEP_4) | instskip(SKIP_1) | instid1(VALU_DEP_4)
	v_fmac_f16_e32 v68, v84, v20
	v_lshrrev_b32_e32 v84, 16, v23
	v_sub_f16_e32 v89, v71, v89
	s_delay_alu instid0(VALU_DEP_4) | instskip(NEXT) | instid1(VALU_DEP_3)
	v_fmac_f16_e32 v88, v92, v73
	v_mul_f16_e32 v60, v83, v84
	s_delay_alu instid0(VALU_DEP_3) | instskip(NEXT) | instid1(VALU_DEP_3)
	v_fma_f16 v71, v71, 2.0, -v89
	v_sub_f16_e32 v88, v70, v88
	s_delay_alu instid0(VALU_DEP_3) | instskip(SKIP_2) | instid1(VALU_DEP_4)
	v_fma_f16 v60, v67, v23, -v60
	v_mul_f16_e32 v67, v67, v84
	v_mul_f16_e64 v84, v40, v208
	v_fma_f16 v70, v70, 2.0, -v88
	s_delay_alu instid0(VALU_DEP_4) | instskip(NEXT) | instid1(VALU_DEP_4)
	v_sub_f16_e32 v60, v36, v60
	v_fmac_f16_e32 v67, v83, v23
	v_mul_f16_e64 v83, v59, v208
	v_fmac_f16_e32 v84, v59, v28
	v_lshrrev_b32_e32 v59, 16, v31
	s_delay_alu instid0(VALU_DEP_4) | instskip(NEXT) | instid1(VALU_DEP_4)
	v_sub_f16_e32 v67, v65, v67
	v_fma_f16 v83, v40, v28, -v83
	v_mul_f16_e64 v40, v58, v219
	s_delay_alu instid0(VALU_DEP_3) | instskip(NEXT) | instid1(VALU_DEP_2)
	v_fma_f16 v65, v65, 2.0, -v67
	v_fma_f16 v40, v41, v29, -v40
	v_mul_f16_e64 v41, v41, v219
	s_delay_alu instid0(VALU_DEP_2) | instskip(NEXT) | instid1(VALU_DEP_2)
	v_sub_f16_e32 v40, v43, v40
	v_fmac_f16_e32 v41, v58, v29
	v_mul_f16_e64 v58, v57, v212
	s_delay_alu instid0(VALU_DEP_3) | instskip(NEXT) | instid1(VALU_DEP_3)
	v_sub_f16_e32 v88, v40, v88
	v_sub_f16_e32 v41, v37, v41
	s_delay_alu instid0(VALU_DEP_3) | instskip(SKIP_2) | instid1(VALU_DEP_4)
	v_fma_f16 v58, v42, v30, -v58
	v_mul_f16_e64 v42, v42, v212
	v_fma_f16 v43, v43, 2.0, -v40
	v_fma_f16 v92, v37, 2.0, -v41
	s_delay_alu instid0(VALU_DEP_4) | instskip(NEXT) | instid1(VALU_DEP_4)
	v_sub_f16_e32 v58, v61, v58
	v_fmac_f16_e32 v42, v57, v30
	v_mul_f16_e32 v57, v94, v59
	v_mul_f16_e32 v59, v90, v59
	s_delay_alu instid0(VALU_DEP_4) | instskip(NEXT) | instid1(VALU_DEP_4)
	v_fma_f16 v61, v61, 2.0, -v58
	v_sub_f16_e32 v42, v62, v42
	s_delay_alu instid0(VALU_DEP_4) | instskip(NEXT) | instid1(VALU_DEP_4)
	v_fma_f16 v57, v90, v31, -v57
	v_fmac_f16_e32 v59, v94, v31
	v_mul_f16_e64 v90, v91, v215
	s_delay_alu instid0(VALU_DEP_4) | instskip(NEXT) | instid1(VALU_DEP_4)
	v_fma_f16 v62, v62, 2.0, -v42
	v_sub_f16_e32 v57, v38, v57
	s_delay_alu instid0(VALU_DEP_4) | instskip(NEXT) | instid1(VALU_DEP_4)
	v_sub_f16_e32 v59, v66, v59
	v_fma_f16 v90, v87, v74, -v90
	v_mul_f16_e64 v87, v87, v215
	s_delay_alu instid0(VALU_DEP_4) | instskip(NEXT) | instid1(VALU_DEP_4)
	v_add_f16_e32 v93, v67, v57
	v_fma_f16 v66, v66, 2.0, -v59
	s_delay_alu instid0(VALU_DEP_3)
	v_fmac_f16_e32 v87, v91, v74
	v_sub_f16_e32 v91, v60, v59
	v_add_f16_e32 v59, v41, v89
	v_fma_f16 v89, v38, 2.0, -v57
	v_fma_f16 v57, v40, 2.0, -v88
	v_fma_f16 v67, v67, 2.0, -v93
	v_fmamk_f16 v38, v88, 0x39a8, v91
	v_fma_f16 v41, v41, 2.0, -v59
	v_fmamk_f16 v37, v59, 0x39a8, v93
	s_delay_alu instid0(VALU_DEP_3) | instskip(SKIP_4) | instid1(VALU_DEP_3)
	v_fmac_f16_e32 v38, 0xb9a8, v59
	v_fma_f16 v59, v36, 2.0, -v60
	v_fma_f16 v60, v60, 2.0, -v91
	v_fmamk_f16 v40, v41, 0xb9a8, v67
	v_fmac_f16_e32 v37, 0x39a8, v88
	v_fmamk_f16 v36, v57, 0xb9a8, v60
	s_delay_alu instid0(VALU_DEP_3)
	v_fmac_f16_e32 v40, 0x39a8, v57
	v_sub_f16_e32 v57, v64, v84
	v_sub_f16_e32 v84, v68, v86
	;; [unrolled: 1-line block ×3, first 2 shown]
	v_fmac_f16_e32 v36, 0xb9a8, v41
	v_sub_f16_e32 v41, v97, v83
	v_sub_f16_e32 v83, v69, v85
	;; [unrolled: 1-line block ×3, first 2 shown]
	v_fma_f16 v68, v68, 2.0, -v84
	v_fma_f16 v88, v96, 2.0, -v86
	v_sub_f16_e32 v84, v41, v84
	v_fma_f16 v69, v69, 2.0, -v83
	v_sub_f16_e32 v86, v58, v86
	v_fma_f16 v90, v95, 2.0, -v85
	v_add_f16_e32 v83, v57, v83
	v_add_f16_e32 v85, v42, v85
	v_fma_f16 v87, v97, 2.0, -v41
	v_fma_f16 v41, v41, 2.0, -v84
	;; [unrolled: 1-line block ×6, first 2 shown]
	v_fmamk_f16 v96, v86, 0x39a8, v84
	v_fmamk_f16 v94, v58, 0xb9a8, v41
	v_sub_f16_e32 v69, v87, v69
	v_sub_f16_e32 v68, v64, v68
	v_fmamk_f16 v95, v42, 0xb9a8, v57
	v_fmac_f16_e32 v96, 0xb9a8, v85
	v_fmac_f16_e32 v94, 0xb9a8, v42
	v_fma_f16 v42, v60, 2.0, -v36
	v_fmamk_f16 v85, v85, 0x39a8, v83
	v_fmac_f16_e32 v95, 0x39a8, v58
	v_fma_f16 v60, v87, 2.0, -v69
	v_fma_f16 v58, v41, 2.0, -v94
	;; [unrolled: 1-line block ×3, first 2 shown]
	v_sub_f16_e32 v67, v65, v66
	v_fma_f16 v57, v57, 2.0, -v95
	v_sub_f16_e32 v66, v92, v70
	v_fma_f16 v169, 0xbb64, v58, v42
	v_sub_f16_e32 v70, v61, v90
	v_fmac_f16_e32 v85, 0x39a8, v86
	v_fmamk_f16 v106, v57, 0xbb64, v41
	v_fma_f16 v64, v64, 2.0, -v68
	v_fmac_f16_e64 v169, 0xb61f, v57
	v_sub_f16_e32 v57, v59, v89
	v_fma_f16 v89, v61, 2.0, -v70
	v_fmac_f16_e32 v106, 0x361f, v58
	v_sub_f16_e32 v58, v43, v71
	v_sub_f16_e32 v71, v62, v88
	v_fma_f16 v88, v92, 2.0, -v66
	v_sub_f16_e32 v66, v57, v66
	v_add_f16_e32 v70, v68, v70
	v_fma_f16 v86, v43, 2.0, -v58
	v_fma_f16 v87, v62, 2.0, -v71
	v_sub_f16_e32 v71, v69, v71
	v_add_f16_e32 v43, v67, v58
	v_fma_f16 v59, v59, 2.0, -v57
	v_fma_f16 v58, v57, 2.0, -v66
	;; [unrolled: 1-line block ×8, first 2 shown]
	v_fmamk_f16 v111, v61, 0xb9a8, v58
	v_fma_f16 v242, 0x39a8, v71, v66
	v_fmamk_f16 v110, v65, 0xb9a8, v57
	v_fma_f16 v237, 0x361f, v94, v36
	v_fma_f16 v239, 0x361f, v95, v40
	v_fmac_f16_e32 v111, 0xb9a8, v65
	v_fma_f16 v65, v91, 2.0, -v38
	v_fmac_f16_e32 v110, 0x39a8, v61
	v_fma_f16 v61, v93, 2.0, -v37
	v_fmac_f16_e64 v242, 0xb9a8, v70
	v_fma_f16 v243, 0x39a8, v70, v43
	v_fmamk_f16 v114, v67, 0xb61f, v65
	v_fma_f16 v240, 0x3b64, v96, v38
	v_fmamk_f16 v115, v68, 0xb61f, v61
	v_fma_f16 v241, 0x3b64, v85, v37
	v_sub_f16_e32 v69, v59, v86
	v_fmac_f16_e32 v114, 0xbb64, v68
	v_sub_f16_e32 v68, v64, v87
	v_fmac_f16_e32 v115, 0x3b64, v67
	v_sub_f16_e32 v67, v62, v88
	v_sub_f16_e32 v70, v60, v89
	v_fmac_f16_e64 v237, 0xbb64, v95
	v_fmac_f16_e64 v239, 0x3b64, v94
	;; [unrolled: 1-line block ×5, first 2 shown]
	v_sub_f16_e64 v236, v69, v68
	v_add_f16_e64 v238, v67, v70
	s_and_saveexec_b32 s10, s0
	s_cbranch_execz .LBB0_15
; %bb.14:
	v_fma_f16 v64, v64, 2.0, -v68
	scratch_load_b32 v68, off, off offset:4 ; 4-byte Folded Reload
	v_fma_f16 v59, v59, 2.0, -v69
	v_fma_f16 v60, v60, 2.0, -v70
	;; [unrolled: 1-line block ×6, first 2 shown]
	v_sub_f16_e32 v60, v59, v60
	v_sub_f16_e32 v64, v62, v64
	v_fma_f16 v58, v58, 2.0, -v111
	v_fma_f16 v57, v57, 2.0, -v110
	;; [unrolled: 1-line block ×11, first 2 shown]
	v_pack_b32_f16 v59, v59, v62
	v_pack_b32_f16 v41, v42, v41
	v_fma_f16 v43, v43, 2.0, -v243
	v_fma_f16 v37, v37, 2.0, -v241
	v_pack_b32_f16 v42, v58, v57
	v_pack_b32_f16 v57, v65, v61
	;; [unrolled: 1-line block ×5, first 2 shown]
	v_perm_b32 v62, v243, v242, 0x5040100
	s_wait_loadcnt 0x0
	v_mad_u16 v68, 0x8c0, v68, v158
	s_delay_alu instid0(VALU_DEP_1) | instskip(NEXT) | instid1(VALU_DEP_1)
	v_and_b32_e32 v68, 0xffff, v68
	v_lshlrev_b32_e32 v68, 2, v68
	s_delay_alu instid0(VALU_DEP_1)
	v_add_nc_u32_e32 v58, 0x400, v68
	v_add_nc_u32_e32 v40, 0x800, v68
	;; [unrolled: 1-line block ×3, first 2 shown]
	ds_store_2addr_b32 v68, v59, v41 offset1:140
	ds_store_2addr_b32 v58, v42, v57 offset0:24 offset1:164
	ds_store_2addr_b32 v40, v61, v36 offset0:48 offset1:188
	v_pack_b32_f16 v36, v66, v43
	v_pack_b32_f16 v40, v60, v64
	v_perm_b32 v41, v106, v169, 0x5040100
	v_add_nc_u32_e32 v42, 0x1000, v68
	v_perm_b32 v43, v110, v111, 0x5040100
	v_perm_b32 v57, v115, v114, 0x5040100
	v_add_nc_u32_e32 v58, 0x1500, v68
	v_perm_b32 v59, v238, v236, 0x5040100
	;; [unrolled: 3-line block ×3, first 2 shown]
	v_add_nc_u32_e32 v65, 0x1e00, v68
	ds_store_2addr_b32 v38, v36, v37 offset0:72 offset1:212
	ds_store_2addr_b32 v42, v40, v41 offset0:96 offset1:236
	;; [unrolled: 1-line block ×5, first 2 shown]
.LBB0_15:
	s_wait_alu 0xfffe
	s_or_b32 exec_lo, exec_lo, s10
	v_lshlrev_b32_e32 v36, 2, v107
	v_lshlrev_b32_e32 v37, 2, v39
	global_wb scope:SCOPE_SE
	s_wait_dscnt 0x0
	s_barrier_signal -1
	s_barrier_wait -1
	global_inv scope:SCOPE_SE
	s_clause 0x1
	global_load_b128 v[40:43], v36, s[2:3] offset:8944
	global_load_b128 v[36:39], v37, s[2:3] offset:8944
	ds_load_2addr_stride64_b32 v[57:58], v107 offset0:70 offset1:77
	ds_load_2addr_stride64_b32 v[64:65], v107 offset0:140 offset1:147
	;; [unrolled: 1-line block ×4, first 2 shown]
	v_lshlrev_b32_e32 v56, 2, v56
	s_wait_dscnt 0x3
	v_lshrrev_b32_e32 v66, 16, v57
	v_lshrrev_b32_e32 v68, 16, v58
	s_wait_dscnt 0x1
	v_lshrrev_b32_e32 v69, 16, v59
	v_lshrrev_b32_e32 v70, 16, v65
	;; [unrolled: 1-line block ×3, first 2 shown]
	s_wait_loadcnt 0x1
	v_lshrrev_b32_e32 v211, 16, v41
	s_wait_loadcnt 0x0
	v_lshrrev_b32_e32 v207, 16, v37
	v_lshrrev_b32_e32 v210, 16, v36
	;; [unrolled: 1-line block ×4, first 2 shown]
	v_mul_f16_e64 v71, v66, v211
	v_mul_f16_e64 v83, v68, v207
	;; [unrolled: 1-line block ×3, first 2 shown]
	s_wait_dscnt 0x0
	v_mul_f16_e64 v120, v61, v210
	v_mul_f16_e64 v99, v58, v207
	v_fma_f16 v87, v57, v41, -v71
	v_lshrrev_b32_e32 v57, 16, v61
	v_fma_f16 v100, v58, v37, -v83
	v_mul_f16_e64 v58, v69, v205
	v_mul_f16_e64 v86, v70, v202
	v_lshrrev_b32_e32 v209, 16, v43
	v_fmac_f16_e32 v120, v57, v36
	v_mul_f16_e64 v57, v57, v210
	v_fma_f16 v246, v59, v38, -v58
	v_fma_f16 v102, v65, v39, -v86
	v_mul_f16_e64 v118, v59, v205
	v_mul_f16_e64 v83, v64, v209
	v_fma_f16 v61, v61, v36, -v57
	ds_load_2addr_stride64_b32 v[57:58], v107 offset1:7
	v_add_f16_e64 v59, v100, v246
	v_mul_f16_e64 v85, v67, v209
	v_mul_f16_e64 v101, v65, v202
	v_fmac_f16_e32 v84, v66, v41
	v_fmac_f16_e32 v83, v67, v43
	;; [unrolled: 1-line block ×4, first 2 shown]
	v_sub_f16_e64 v67, v246, v102
	v_fmac_f16_e32 v101, v70, v39
	ds_load_2addr_stride64_b32 v[70:71], v107 offset0:98 offset1:105
	v_lshrrev_b32_e32 v217, 16, v40
	v_lshrrev_b32_e32 v216, 16, v42
	v_fma_f16 v64, v64, v43, -v85
	v_sub_f16_e32 v68, v118, v101
	v_sub_f16_e64 v91, v100, v246
	v_sub_f16_e32 v93, v120, v101
	v_sub_f16_e32 v95, v61, v102
	s_wait_dscnt 0x1
	v_fma_f16 v89, -0.5, v59, v58
	v_add_f16_e32 v59, v61, v102
	v_lshrrev_b32_e32 v65, 16, v58
	v_add_f16_e32 v66, v58, v61
	s_delay_alu instid0(VALU_DEP_3) | instskip(SKIP_4) | instid1(VALU_DEP_3)
	v_fmac_f16_e32 v58, -0.5, v59
	v_sub_f16_e32 v59, v100, v61
	s_wait_dscnt 0x0
	v_lshrrev_b32_e32 v86, 16, v71
	v_mul_f16_e64 v88, v71, v216
	v_add_f16_e32 v92, v59, v67
	v_add_f16_e32 v59, v99, v118
	;; [unrolled: 1-line block ×3, first 2 shown]
	s_delay_alu instid0(VALU_DEP_4) | instskip(SKIP_1) | instid1(VALU_DEP_4)
	v_fmac_f16_e32 v88, v86, v42
	v_mul_f16_e64 v86, v86, v216
	v_fma_f16 v90, -0.5, v59, v65
	v_add_f16_e32 v59, v120, v101
	s_delay_alu instid0(VALU_DEP_4) | instskip(SKIP_1) | instid1(VALU_DEP_3)
	v_sub_f16_e32 v126, v83, v88
	v_sub_f16_e64 v132, v88, v83
	v_fmac_f16_e32 v65, -0.5, v59
	v_sub_f16_e32 v59, v99, v120
	s_delay_alu instid0(VALU_DEP_2) | instskip(NEXT) | instid1(VALU_DEP_2)
	v_fmamk_f16 v98, v91, 0x3b9c, v65
	v_add_f16_e32 v94, v59, v68
	ds_load_2addr_stride64_b32 v[68:69], v107 offset0:28 offset1:35
	v_fmac_f16_e32 v65, 0xbb9c, v91
	v_fmac_f16_e32 v98, 0xb8b4, v95
	s_delay_alu instid0(VALU_DEP_2) | instskip(NEXT) | instid1(VALU_DEP_2)
	v_fmac_f16_e32 v65, 0x38b4, v95
	v_fmac_f16_e32 v98, 0x34f2, v94
	s_delay_alu instid0(VALU_DEP_2) | instskip(SKIP_3) | instid1(VALU_DEP_1)
	v_fmac_f16_e32 v65, 0x34f2, v94
	s_wait_dscnt 0x0
	v_lshrrev_b32_e32 v59, 16, v69
	v_mul_f16_e64 v85, v69, v217
	v_fmac_f16_e32 v85, v59, v40
	v_mul_f16_e64 v59, v59, v217
	s_delay_alu instid0(VALU_DEP_2) | instskip(NEXT) | instid1(VALU_DEP_2)
	v_add_f16_e64 v128, v85, v83
	v_fma_f16 v59, v69, v40, -v59
	v_fma_f16 v69, v71, v42, -v86
	v_sub_f16_e32 v71, v99, v118
	s_delay_alu instid0(VALU_DEP_3) | instskip(NEXT) | instid1(VALU_DEP_3)
	v_add_f16_e32 v96, v59, v64
	v_sub_f16_e32 v122, v64, v69
	s_delay_alu instid0(VALU_DEP_3)
	v_fmamk_f16 v97, v71, 0xbb9c, v58
	v_fmac_f16_e32 v58, 0x3b9c, v71
	v_add_f16_e32 v86, v87, v69
	v_fma_f16 v104, -0.5, v96, v57
	v_sub_f16_e32 v123, v69, v64
	v_fmac_f16_e32 v97, 0x38b4, v93
	v_fmac_f16_e32 v58, 0xb8b4, v93
	v_fma_f16 v86, -0.5, v86, v57
	s_delay_alu instid0(VALU_DEP_3) | instskip(NEXT) | instid1(VALU_DEP_3)
	v_fmac_f16_e32 v97, 0x34f2, v92
	v_fmac_f16_e32 v58, 0x34f2, v92
	s_delay_alu instid0(VALU_DEP_1) | instskip(SKIP_3) | instid1(VALU_DEP_3)
	v_pack_b32_f16 v96, v58, v65
	v_sub_f16_e32 v65, v59, v87
	v_lshrrev_b32_e32 v58, 16, v57
	v_add_f16_e32 v57, v57, v59
	v_add_f16_e32 v65, v65, v122
	v_sub_f16_e32 v122, v87, v59
	s_delay_alu instid0(VALU_DEP_4) | instskip(NEXT) | instid1(VALU_DEP_4)
	v_add_f16_e64 v130, v58, v85
	v_add_f16_e32 v57, v57, v87
	v_sub_f16_e32 v87, v87, v69
	v_sub_f16_e32 v59, v59, v64
	v_add_f16_e32 v122, v122, v123
	v_sub_f16_e32 v123, v85, v84
	v_add_f16_e32 v57, v57, v69
	v_add_f16_e64 v69, v130, v84
	s_delay_alu instid0(VALU_DEP_3) | instskip(SKIP_1) | instid1(VALU_DEP_3)
	v_add_f16_e32 v123, v123, v126
	v_add_f16_e32 v126, v84, v88
	;; [unrolled: 1-line block ×4, first 2 shown]
	v_sub_f16_e32 v64, v85, v83
	s_delay_alu instid0(VALU_DEP_4)
	v_fma_f16 v126, -0.5, v126, v58
	v_fmac_f16_e64 v58, -0.5, v128
	v_sub_f16_e64 v128, v84, v85
	v_sub_f16_e32 v84, v84, v88
	v_fmamk_f16 v85, v64, 0x3b9c, v86
	v_fmac_f16_e32 v86, 0xbb9c, v64
	s_delay_alu instid0(VALU_DEP_4) | instskip(NEXT) | instid1(VALU_DEP_4)
	v_add_f16_e64 v128, v128, v132
	v_fmamk_f16 v88, v84, 0xbb9c, v104
	v_fmac_f16_e32 v104, 0x3b9c, v84
	v_fmac_f16_e32 v85, 0x38b4, v84
	;; [unrolled: 1-line block ×3, first 2 shown]
	s_delay_alu instid0(VALU_DEP_4) | instskip(NEXT) | instid1(VALU_DEP_4)
	v_fmac_f16_e32 v88, 0x38b4, v64
	v_fmac_f16_e32 v104, 0xb8b4, v64
	v_add_f16_e32 v64, v69, v83
	v_fmamk_f16 v83, v87, 0x3b9c, v58
	v_fmac_f16_e32 v58, 0xbb9c, v87
	v_fmamk_f16 v69, v59, 0xbb9c, v126
	v_fmac_f16_e32 v126, 0x3b9c, v59
	v_pack_b32_f16 v57, v57, v64
	v_fmac_f16_e32 v83, 0xb8b4, v59
	v_fmac_f16_e32 v58, 0x38b4, v59
	v_add_f16_e32 v59, v66, v100
	v_add_f16_e32 v64, v67, v99
	v_fmac_f16_e32 v69, 0xb8b4, v87
	v_fmac_f16_e32 v126, 0x38b4, v87
	;; [unrolled: 1-line block ×3, first 2 shown]
	v_add_f16_e64 v59, v59, v246
	v_add_f16_e32 v64, v64, v118
	v_fmac_f16_e32 v88, 0x34f2, v122
	v_fmac_f16_e32 v69, 0x34f2, v123
	v_fmac_f16_e64 v83, 0x34f2, v128
	v_add_f16_e32 v59, v59, v102
	v_add_f16_e32 v64, v64, v101
	v_fmac_f16_e32 v104, 0x34f2, v122
	v_fmac_f16_e64 v58, 0x34f2, v128
	v_fmac_f16_e32 v86, 0x34f2, v65
	v_fmac_f16_e32 v126, 0x34f2, v123
	v_pack_b32_f16 v59, v59, v64
	v_pack_b32_f16 v64, v85, v69
	v_pack_b32_f16 v69, v88, v83
	v_pack_b32_f16 v58, v104, v58
	v_pack_b32_f16 v104, v86, v126
	ds_load_2addr_stride64_b32 v[87:88], v107 offset0:84 offset1:91
	ds_load_2addr_stride64_b32 v[66:67], v107 offset0:154 offset1:161
	;; [unrolled: 1-line block ×4, first 2 shown]
	ds_store_b32 v107, v64 offset:8960
	ds_load_2addr_stride64_b32 v[64:65], v107 offset0:14 offset1:21
	ds_store_b32 v107, v69 offset:17920
	ds_store_b32 v107, v58 offset:26880
	;; [unrolled: 1-line block ×3, first 2 shown]
	ds_load_b32 v69, v107 offset:43008
	ds_store_2addr_stride64_b32 v107, v57, v59 offset1:7
	global_load_b128 v[56:59], v56, s[2:3] offset:8944
	v_lshrrev_b32_e32 v104, 16, v62
	v_sub_f16_e32 v99, v120, v99
	s_wait_dscnt 0x5
	v_lshrrev_b32_e32 v150, 16, v64
	s_wait_loadcnt 0x0
	v_lshrrev_b32_e32 v245, 16, v56
	v_lshrrev_b32_e32 v244, 16, v58
	;; [unrolled: 1-line block ×3, first 2 shown]
	s_delay_alu instid0(VALU_DEP_3) | instskip(SKIP_1) | instid1(VALU_DEP_4)
	v_mul_f16_e64 v122, v104, v245
	v_mul_f16_e64 v140, v62, v245
	;; [unrolled: 1-line block ×3, first 2 shown]
	s_delay_alu instid0(VALU_DEP_4) | instskip(NEXT) | instid1(VALU_DEP_4)
	v_mul_f16_e64 v148, v87, v247
	v_fma_f16 v138, v62, v56, -v122
	v_lshrrev_b32_e32 v62, 16, v60
	v_fmac_f16_e64 v140, v104, v56
	s_delay_alu instid0(VALU_DEP_2) | instskip(SKIP_1) | instid1(VALU_DEP_3)
	v_mul_f16_e64 v122, v62, v244
	v_fmac_f16_e64 v144, v62, v58
	v_add_f16_e64 v200, v150, v140
	s_delay_alu instid0(VALU_DEP_3)
	v_fma_f16 v143, v60, v58, -v122
	v_sub_f16_e32 v60, v61, v100
	v_sub_f16_e64 v61, v102, v246
	v_lshrrev_b32_e32 v246, 16, v59
	v_sub_f16_e32 v100, v101, v118
	v_lshrrev_b32_e32 v101, 16, v88
	s_delay_alu instid0(VALU_DEP_4) | instskip(SKIP_4) | instid1(VALU_DEP_4)
	v_add_f16_e32 v104, v60, v61
	v_lshrrev_b32_e32 v60, 16, v87
	v_lshrrev_b32_e32 v61, 16, v66
	v_mul_f16_e64 v252, v66, v246
	v_add_f16_e64 v147, v99, v100
	v_fmac_f16_e64 v148, v60, v57
	v_mul_f16_e64 v60, v60, v247
	s_delay_alu instid0(VALU_DEP_4) | instskip(SKIP_1) | instid1(VALU_DEP_4)
	v_fmac_f16_e64 v252, v61, v59
	v_mul_f16_e64 v61, v61, v246
	v_sub_f16_e64 v155, v148, v144
	s_delay_alu instid0(VALU_DEP_4) | instskip(NEXT) | instid1(VALU_DEP_4)
	v_fma_f16 v253, v87, v57, -v60
	v_sub_f16_e64 v195, v140, v252
	s_delay_alu instid0(VALU_DEP_4)
	v_fma_f16 v66, v66, v59, -v61
	v_sub_f16_e64 v92, v148, v140
	v_sub_f16_e64 v94, v144, v252
	;; [unrolled: 1-line block ×6, first 2 shown]
	v_add_f16_e32 v92, v92, v94
	v_pack_b32_f16 v94, v97, v98
	s_delay_alu instid0(VALU_DEP_4) | instskip(SKIP_2) | instid1(VALU_DEP_1)
	v_add_f16_e64 v254, v60, v61
	v_sub_f16_e64 v60, v140, v148
	v_sub_f16_e64 v61, v252, v144
	v_add_f16_e64 v255, v60, v61
	v_fmamk_f16 v60, v93, 0x3b9c, v89
	v_fmamk_f16 v61, v95, 0xbb9c, v90
	v_fmac_f16_e32 v89, 0xbb9c, v93
	v_fmac_f16_e32 v90, 0x3b9c, v95
	s_delay_alu instid0(VALU_DEP_4) | instskip(NEXT) | instid1(VALU_DEP_4)
	v_fmac_f16_e32 v60, 0x38b4, v71
	v_fmac_f16_e32 v61, 0xb8b4, v91
	s_delay_alu instid0(VALU_DEP_4) | instskip(NEXT) | instid1(VALU_DEP_4)
	v_fmac_f16_e32 v89, 0xb8b4, v71
	v_fmac_f16_e32 v90, 0x38b4, v91
	v_lshrrev_b32_e32 v71, 16, v86
	v_fmac_f16_e32 v60, 0x34f2, v104
	v_fmac_f16_e64 v61, 0x34f2, v147
	v_fmac_f16_e32 v89, 0x34f2, v104
	v_fmac_f16_e64 v90, 0x34f2, v147
	s_delay_alu instid0(VALU_DEP_3) | instskip(SKIP_1) | instid1(VALU_DEP_1)
	v_pack_b32_f16 v60, v60, v61
	v_add_f16_e64 v61, v253, v143
	v_fma_f16 v153, -0.5, v61, v64
	v_add_f16_e64 v61, v148, v144
	s_delay_alu instid0(VALU_DEP_1) | instskip(NEXT) | instid1(VALU_DEP_3)
	v_fma_f16 v105, -0.5, v61, v150
	v_fma_f16 v61, 0x3b9c, v195, v153
	v_fmac_f16_e64 v153, 0xbb9c, v195
	s_delay_alu instid0(VALU_DEP_3) | instskip(NEXT) | instid1(VALU_DEP_3)
	v_fma_f16 v62, 0xbb9c, v156, v105
	v_fmac_f16_e64 v61, 0x38b4, v155
	v_fmac_f16_e64 v105, 0x3b9c, v156
	s_delay_alu instid0(VALU_DEP_4) | instskip(NEXT) | instid1(VALU_DEP_4)
	v_fmac_f16_e64 v153, 0xb8b4, v155
	v_fmac_f16_e64 v62, 0xb8b4, v194
	s_delay_alu instid0(VALU_DEP_4) | instskip(NEXT) | instid1(VALU_DEP_4)
	;; [unrolled: 3-line block ×3, first 2 shown]
	v_fmac_f16_e64 v153, 0x34f2, v254
	v_fmac_f16_e64 v62, 0x34f2, v255
	s_delay_alu instid0(VALU_DEP_3) | instskip(NEXT) | instid1(VALU_DEP_2)
	v_fmac_f16_e64 v105, 0x34f2, v255
	v_pack_b32_f16 v61, v61, v62
	ds_store_2addr_stride64_b32 v107, v60, v61 offset0:42 offset1:49
	v_lshlrev_b32_e32 v60, 2, v63
	global_load_b128 v[60:63], v60, s[2:3] offset:8944
	s_wait_loadcnt 0x0
	v_lshrrev_b32_e32 v249, 16, v61
	v_lshrrev_b32_e32 v248, 16, v63
	;; [unrolled: 1-line block ×4, first 2 shown]
	s_delay_alu instid0(VALU_DEP_4) | instskip(NEXT) | instid1(VALU_DEP_2)
	v_mul_f16_e64 v87, v101, v249
	v_mul_f16_e64 v122, v85, v251
	s_delay_alu instid0(VALU_DEP_2) | instskip(SKIP_2) | instid1(VALU_DEP_2)
	v_fma_f16 v100, v88, v61, -v87
	v_mul_f16_e64 v87, v88, v249
	v_lshrrev_b32_e32 v88, 16, v67
	v_fmac_f16_e32 v87, v101, v61
	s_delay_alu instid0(VALU_DEP_2) | instskip(SKIP_1) | instid1(VALU_DEP_2)
	v_mul_f16_e64 v99, v88, v248
	v_mul_f16_e64 v101, v83, v250
	v_fma_f16 v102, v67, v63, -v99
	v_mul_f16_e64 v99, v67, v248
	v_lshrrev_b32_e32 v67, 16, v83
	s_delay_alu instid0(VALU_DEP_2) | instskip(NEXT) | instid1(VALU_DEP_2)
	v_fmac_f16_e32 v99, v88, v63
	v_fmac_f16_e32 v101, v67, v62
	v_mul_f16_e64 v67, v67, v250
	v_lshrrev_b32_e32 v88, 16, v85
	s_delay_alu instid0(VALU_DEP_3) | instskip(NEXT) | instid1(VALU_DEP_3)
	v_sub_f16_e32 v118, v101, v99
	v_fma_f16 v128, v83, v62, -v67
	s_delay_alu instid0(VALU_DEP_3)
	v_fmac_f16_e32 v122, v88, v60
	v_mul_f16_e64 v88, v88, v251
	v_lshrrev_b32_e32 v83, 16, v65
	v_sub_f16_e64 v132, v87, v101
	v_add_f16_e64 v67, v100, v128
	v_sub_f16_e64 v130, v100, v128
	v_fma_f16 v157, v85, v60, -v88
	v_sub_f16_e64 v88, v128, v102
	v_add_f16_e64 v199, v83, v122
	v_fma_f16 v85, -0.5, v67, v65
	v_sub_f16_e64 v136, v122, v99
	v_add_f16_e64 v67, v157, v102
	v_add_f16_e64 v198, v65, v157
	v_sub_f16_e64 v134, v157, v102
	s_delay_alu instid0(VALU_DEP_3) | instskip(SKIP_1) | instid1(VALU_DEP_1)
	v_fmac_f16_e32 v65, -0.5, v67
	v_sub_f16_e64 v67, v100, v157
	v_add_f16_e32 v120, v67, v88
	v_add_f16_e32 v67, v87, v101
	s_delay_alu instid0(VALU_DEP_1) | instskip(SKIP_1) | instid1(VALU_DEP_1)
	v_fma_f16 v88, -0.5, v67, v83
	v_add_f16_e32 v67, v122, v99
	v_fmac_f16_e32 v83, -0.5, v67
	v_sub_f16_e32 v67, v87, v122
	s_delay_alu instid0(VALU_DEP_2) | instskip(NEXT) | instid1(VALU_DEP_2)
	v_fma_f16 v123, 0x3b9c, v130, v83
	v_add_f16_e32 v126, v67, v118
	v_fma_f16 v118, 0xbb9c, v132, v65
	v_fmac_f16_e64 v65, 0x3b9c, v132
	v_fmac_f16_e64 v83, 0xbb9c, v130
	v_add_f16_e64 v67, v138, v66
	v_fmac_f16_e64 v123, 0xb8b4, v134
	v_fmac_f16_e64 v118, 0x38b4, v136
	;; [unrolled: 1-line block ×4, first 2 shown]
	v_fma_f16 v67, -0.5, v67, v64
	v_add_f16_e64 v64, v64, v138
	v_fmac_f16_e32 v118, 0x34f2, v120
	v_fmac_f16_e32 v65, 0x34f2, v120
	;; [unrolled: 1-line block ×3, first 2 shown]
	v_fma_f16 v97, 0xbb9c, v155, v67
	v_fmac_f16_e64 v67, 0x3b9c, v155
	v_add_f16_e64 v64, v64, v253
	v_fmac_f16_e32 v123, 0x34f2, v126
	v_pack_b32_f16 v83, v65, v83
	v_sub_f16_e64 v65, v253, v138
	v_sub_f16_e64 v138, v143, v66
	v_fmac_f16_e64 v67, 0xb8b4, v195
	v_fmac_f16_e64 v97, 0x38b4, v195
	v_add_f16_e64 v64, v64, v143
	s_delay_alu instid0(VALU_DEP_4) | instskip(SKIP_1) | instid1(VALU_DEP_3)
	v_add_f16_e64 v65, v65, v138
	v_add_f16_e64 v138, v140, v252
	v_add_f16_e32 v64, v64, v66
	v_add_f16_e64 v66, v199, v87
	s_delay_alu instid0(VALU_DEP_4) | instskip(NEXT) | instid1(VALU_DEP_4)
	v_fmac_f16_e32 v67, 0x34f2, v65
	v_fmac_f16_e64 v150, -0.5, v138
	v_fmac_f16_e32 v97, 0x34f2, v65
	v_sub_f16_e32 v87, v122, v87
	v_add_f16_e32 v66, v66, v101
	s_delay_alu instid0(VALU_DEP_4) | instskip(SKIP_1) | instid1(VALU_DEP_3)
	v_fma_f16 v98, 0x3b9c, v194, v150
	v_fmac_f16_e64 v150, 0xbb9c, v194
	v_add_f16_e32 v66, v66, v99
	s_delay_alu instid0(VALU_DEP_3) | instskip(NEXT) | instid1(VALU_DEP_3)
	v_fmac_f16_e64 v98, 0xb8b4, v156
	v_fmac_f16_e64 v150, 0x38b4, v156
	s_delay_alu instid0(VALU_DEP_2) | instskip(NEXT) | instid1(VALU_DEP_2)
	v_fmac_f16_e32 v98, 0x34f2, v92
	v_fmac_f16_e64 v150, 0x34f2, v92
	v_lshrrev_b32_e32 v92, 16, v84
	s_delay_alu instid0(VALU_DEP_3) | instskip(NEXT) | instid1(VALU_DEP_3)
	v_pack_b32_f16 v97, v97, v98
	v_pack_b32_f16 v65, v67, v150
	;; [unrolled: 1-line block ×3, first 2 shown]
	ds_store_2addr_stride64_b32 v107, v94, v97 offset0:77 offset1:84
	ds_store_2addr_stride64_b32 v107, v96, v65 offset0:112 offset1:119
	v_pack_b32_f16 v65, v89, v90
	v_lshrrev_b32_e32 v90, 16, v70
	ds_store_2addr_stride64_b32 v107, v65, v67 offset0:147 offset1:154
	v_add_f16_e64 v65, v200, v148
	s_delay_alu instid0(VALU_DEP_1) | instskip(NEXT) | instid1(VALU_DEP_1)
	v_add_f16_e64 v65, v65, v144
	v_add_f16_e64 v65, v65, v252
	s_delay_alu instid0(VALU_DEP_1) | instskip(SKIP_1) | instid1(VALU_DEP_1)
	v_pack_b32_f16 v64, v64, v65
	v_add_f16_e64 v65, v198, v100
	v_add_f16_e64 v65, v65, v128
	s_delay_alu instid0(VALU_DEP_1) | instskip(NEXT) | instid1(VALU_DEP_1)
	v_add_f16_e32 v65, v65, v102
	v_pack_b32_f16 v65, v65, v66
	ds_store_2addr_stride64_b32 v107, v64, v65 offset0:14 offset1:21
	scratch_load_b32 v64, off, off          ; 4-byte Folded Reload
	s_wait_loadcnt 0x0
	global_load_b128 v[64:67], v64, s[2:3] offset:8944
	s_add_nc_u64 s[2:3], s[16:17], 0xaf00
	s_wait_loadcnt 0x0
	v_lshrrev_b32_e32 v253, 16, v66
	v_lshrrev_b32_e32 v254, 16, v64
	v_lshrrev_b32_e32 v255, 16, v65
	v_lshrrev_b32_e32 v252, 16, v67
	s_delay_alu instid0(VALU_DEP_4) | instskip(NEXT) | instid1(VALU_DEP_4)
	v_mul_f16_e64 v93, v92, v253
	v_mul_f16_e64 v89, v71, v254
	s_delay_alu instid0(VALU_DEP_4) | instskip(NEXT) | instid1(VALU_DEP_3)
	v_mul_f16_e64 v91, v90, v255
	v_fma_f16 v93, v84, v66, -v93
	v_mul_f16_e64 v84, v84, v253
	s_delay_alu instid0(VALU_DEP_4)
	v_fma_f16 v89, v86, v64, -v89
	v_mul_f16_e64 v86, v86, v254
	v_fma_f16 v91, v70, v65, -v91
	v_mul_f16_e64 v70, v70, v255
	v_fmac_f16_e32 v84, v92, v66
	s_wait_dscnt 0x6
	v_lshrrev_b32_e32 v92, 16, v69
	v_fmac_f16_e32 v86, v71, v64
	v_sub_f16_e64 v71, v157, v100
	v_fmac_f16_e32 v70, v90, v65
	v_sub_f16_e64 v90, v102, v128
	v_mul_f16_e64 v94, v92, v252
	s_delay_alu instid0(VALU_DEP_3) | instskip(NEXT) | instid1(VALU_DEP_3)
	v_sub_f16_e32 v98, v70, v84
	v_add_f16_e32 v71, v71, v90
	s_delay_alu instid0(VALU_DEP_3) | instskip(SKIP_4) | instid1(VALU_DEP_4)
	v_fma_f16 v94, v69, v67, -v94
	v_mul_f16_e64 v69, v69, v252
	v_sub_f16_e32 v90, v99, v101
	v_add_f16_e32 v99, v70, v84
	v_sub_f16_e32 v101, v91, v93
	v_fmac_f16_e32 v69, v92, v67
	v_fma_f16 v92, 0x3b9c, v136, v85
	v_fmac_f16_e64 v85, 0xbb9c, v136
	v_add_f16_e32 v87, v87, v90
	v_fma_f16 v90, 0xbb9c, v134, v88
	v_fmac_f16_e64 v88, 0x3b9c, v134
	v_fmac_f16_e64 v92, 0x38b4, v132
	;; [unrolled: 1-line block ×3, first 2 shown]
	v_sub_f16_e32 v95, v69, v84
	v_fmac_f16_e64 v90, 0xb8b4, v130
	v_fmac_f16_e64 v88, 0x38b4, v130
	v_fmac_f16_e32 v92, 0x34f2, v71
	v_fmac_f16_e32 v85, 0x34f2, v71
	v_sub_f16_e32 v71, v89, v91
	v_fmac_f16_e32 v90, 0x34f2, v87
	v_fmac_f16_e32 v88, 0x34f2, v87
	v_sub_f16_e32 v87, v94, v93
	s_delay_alu instid0(VALU_DEP_3) | instskip(NEXT) | instid1(VALU_DEP_3)
	v_pack_b32_f16 v90, v92, v90
	v_pack_b32_f16 v85, v85, v88
	s_delay_alu instid0(VALU_DEP_3) | instskip(SKIP_3) | instid1(VALU_DEP_3)
	v_add_f16_e32 v71, v71, v87
	v_sub_f16_e32 v87, v86, v70
	v_add_f16_e32 v88, v68, v89
	v_pack_b32_f16 v92, v118, v123
	v_add_f16_e32 v87, v87, v95
	v_lshrrev_b32_e32 v95, 16, v68
	s_delay_alu instid0(VALU_DEP_4) | instskip(NEXT) | instid1(VALU_DEP_2)
	v_add_f16_e32 v88, v88, v91
	v_add_f16_e32 v96, v95, v86
	s_delay_alu instid0(VALU_DEP_2) | instskip(SKIP_2) | instid1(VALU_DEP_4)
	v_add_f16_e32 v88, v88, v93
	v_fma_f16 v118, -0.5, v99, v95
	v_sub_f16_e32 v99, v89, v94
	v_add_f16_e32 v96, v96, v70
	s_delay_alu instid0(VALU_DEP_4) | instskip(SKIP_1) | instid1(VALU_DEP_4)
	v_add_f16_e32 v88, v88, v94
	v_sub_f16_e32 v70, v70, v86
	v_fmamk_f16 v100, v99, 0xbb9c, v118
	v_fmac_f16_e32 v118, 0x3b9c, v99
	v_add_f16_e32 v96, v96, v84
	s_delay_alu instid0(VALU_DEP_3) | instskip(NEXT) | instid1(VALU_DEP_3)
	v_fmac_f16_e32 v100, 0xb8b4, v101
	v_fmac_f16_e32 v118, 0x38b4, v101
	s_delay_alu instid0(VALU_DEP_3) | instskip(NEXT) | instid1(VALU_DEP_3)
	v_add_f16_e32 v96, v96, v69
	v_fmac_f16_e32 v100, 0x34f2, v87
	s_delay_alu instid0(VALU_DEP_3) | instskip(NEXT) | instid1(VALU_DEP_3)
	v_fmac_f16_e32 v118, 0x34f2, v87
	v_pack_b32_f16 v88, v88, v96
	v_add_f16_e32 v96, v91, v93
	s_delay_alu instid0(VALU_DEP_1) | instskip(SKIP_3) | instid1(VALU_DEP_3)
	v_fma_f16 v120, -0.5, v96, v68
	v_sub_f16_e32 v96, v86, v69
	v_add_f16_e32 v86, v86, v69
	v_sub_f16_e32 v69, v84, v69
	v_fmamk_f16 v97, v96, 0x3b9c, v120
	s_delay_alu instid0(VALU_DEP_3) | instskip(NEXT) | instid1(VALU_DEP_3)
	v_fmac_f16_e32 v95, -0.5, v86
	v_add_f16_e32 v69, v70, v69
	v_fmac_f16_e32 v120, 0xbb9c, v96
	s_delay_alu instid0(VALU_DEP_4) | instskip(NEXT) | instid1(VALU_DEP_4)
	v_fmac_f16_e32 v97, 0x38b4, v98
	v_fmamk_f16 v84, v101, 0x3b9c, v95
	v_fmac_f16_e32 v95, 0xbb9c, v101
	s_delay_alu instid0(VALU_DEP_4) | instskip(NEXT) | instid1(VALU_DEP_4)
	v_fmac_f16_e32 v120, 0xb8b4, v98
	v_fmac_f16_e32 v97, 0x34f2, v71
	s_delay_alu instid0(VALU_DEP_4) | instskip(NEXT) | instid1(VALU_DEP_4)
	v_fmac_f16_e32 v84, 0xb8b4, v99
	;; [unrolled: 3-line block ×3, first 2 shown]
	v_pack_b32_f16 v97, v97, v100
	ds_store_b32 v107, v92 offset:23296
	ds_store_b32 v107, v83 offset:32256
	;; [unrolled: 1-line block ×4, first 2 shown]
	ds_store_2addr_stride64_b32 v107, v90, v97 offset0:56 offset1:63
	v_add_f16_e32 v85, v89, v94
	v_sub_f16_e32 v83, v91, v89
	v_sub_f16_e32 v88, v93, v94
	v_fmac_f16_e32 v84, 0x34f2, v69
	v_fmac_f16_e32 v95, 0x34f2, v69
	v_fmac_f16_e32 v68, -0.5, v85
	s_delay_alu instid0(VALU_DEP_4) | instskip(NEXT) | instid1(VALU_DEP_2)
	v_add_f16_e32 v83, v83, v88
	v_fmamk_f16 v70, v98, 0xbb9c, v68
	v_fmac_f16_e32 v68, 0x3b9c, v98
	s_delay_alu instid0(VALU_DEP_2) | instskip(NEXT) | instid1(VALU_DEP_2)
	v_fmac_f16_e32 v70, 0x38b4, v96
	v_fmac_f16_e32 v68, 0xb8b4, v96
	s_delay_alu instid0(VALU_DEP_2) | instskip(NEXT) | instid1(VALU_DEP_2)
	v_fmac_f16_e32 v70, 0x34f2, v83
	v_fmac_f16_e32 v68, 0x34f2, v83
	s_delay_alu instid0(VALU_DEP_2) | instskip(NEXT) | instid1(VALU_DEP_2)
	v_pack_b32_f16 v69, v70, v84
	v_pack_b32_f16 v68, v68, v95
	ds_store_b32 v107, v69 offset:25088
	ds_store_b32 v107, v68 offset:34048
	v_pack_b32_f16 v68, v120, v118
	ds_store_b32 v107, v68 offset:43008
	global_wb scope:SCOPE_SE
	s_wait_dscnt 0x0
	s_barrier_signal -1
	s_barrier_wait -1
	global_inv scope:SCOPE_SE
	global_load_b32 v70, v[78:79], off offset:44800
	ds_load_2addr_stride64_b32 v[68:69], v107 offset1:7
	global_load_b32 v90, v107, s[2:3] offset:22400
	s_wait_dscnt 0x0
	v_lshrrev_b32_e32 v83, 16, v68
	s_wait_loadcnt 0x1
	v_lshrrev_b32_e32 v71, 16, v70
	s_wait_loadcnt 0x0
	v_lshrrev_b32_e32 v91, 16, v90
	s_delay_alu instid0(VALU_DEP_2) | instskip(SKIP_1) | instid1(VALU_DEP_2)
	v_mul_f16_e32 v84, v68, v71
	v_mul_f16_e32 v71, v83, v71
	v_fmac_f16_e32 v84, v83, v70
	s_delay_alu instid0(VALU_DEP_2)
	v_fma_f16 v70, v68, v70, -v71
	global_load_b32 v71, v107, s[2:3] offset:1792
	v_lshrrev_b32_e32 v83, 16, v69
	v_pack_b32_f16 v70, v70, v84
	ds_store_b32 v107, v70
	v_add_nc_u32_e32 v70, 0xc0, v107
	ds_load_2addr_stride64_b32 v[122:123], v70 offset0:57 offset1:64
	s_wait_dscnt 0x0
	v_lshrrev_b32_e32 v104, 16, v122
	v_lshrrev_b32_e32 v105, 16, v123
	s_wait_loadcnt 0x0
	v_lshrrev_b32_e32 v68, 16, v71
	s_delay_alu instid0(VALU_DEP_1) | instskip(SKIP_1) | instid1(VALU_DEP_2)
	v_mul_f16_e32 v85, v83, v68
	v_mul_f16_e32 v68, v69, v68
	v_fma_f16 v69, v69, v71, -v85
	s_delay_alu instid0(VALU_DEP_2)
	v_fmac_f16_e32 v68, v83, v71
	global_load_b32 v83, v107, s[2:3] offset:11200
	ds_load_2addr_stride64_b32 v[84:85], v70 offset0:43 offset1:50
	v_pack_b32_f16 v68, v69, v68
	s_wait_dscnt 0x0
	v_lshrrev_b32_e32 v87, 16, v84
	v_lshrrev_b32_e32 v88, 16, v85
	s_wait_loadcnt 0x0
	v_lshrrev_b32_e32 v86, 16, v83
	s_delay_alu instid0(VALU_DEP_1) | instskip(SKIP_1) | instid1(VALU_DEP_2)
	v_mul_f16_e32 v71, v84, v86
	v_mul_f16_e32 v86, v87, v86
	v_fmac_f16_e32 v71, v87, v83
	global_load_b32 v87, v107, s[2:3] offset:12992
	v_fma_f16 v83, v84, v83, -v86
	s_delay_alu instid0(VALU_DEP_1) | instskip(SKIP_2) | instid1(VALU_DEP_1)
	v_pack_b32_f16 v71, v83, v71
	s_wait_loadcnt 0x0
	v_lshrrev_b32_e32 v84, 16, v87
	v_mul_f16_e32 v86, v88, v84
	v_mul_f16_e32 v84, v85, v84
	s_delay_alu instid0(VALU_DEP_2) | instskip(SKIP_1) | instid1(VALU_DEP_3)
	v_fma_f16 v86, v85, v87, -v86
	v_add_nc_u32_e32 v85, 0x80, v107
	v_fmac_f16_e32 v84, v88, v87
	ds_load_2addr_stride64_b32 v[88:89], v85 offset0:87 offset1:94
	ds_load_2addr_stride64_b32 v[143:144], v85 offset0:101 offset1:108
	v_pack_b32_f16 v83, v86, v84
	ds_store_2addr_stride64_b32 v70, v71, v83 offset0:43 offset1:50
	s_wait_dscnt 0x2
	v_lshrrev_b32_e32 v92, 16, v88
	v_mul_f16_e32 v87, v88, v91
	v_lshrrev_b32_e32 v93, 16, v89
	s_wait_dscnt 0x1
	v_lshrrev_b32_e32 v126, 16, v143
	v_lshrrev_b32_e32 v130, 16, v144
	v_mul_f16_e32 v91, v92, v91
	v_fmac_f16_e32 v87, v92, v90
	global_load_b32 v92, v107, s[2:3] offset:24192
	v_fma_f16 v88, v88, v90, -v91
	s_delay_alu instid0(VALU_DEP_1) | instskip(SKIP_2) | instid1(VALU_DEP_1)
	v_pack_b32_f16 v71, v88, v87
	s_wait_loadcnt 0x0
	v_lshrrev_b32_e32 v90, 16, v92
	v_mul_f16_e32 v91, v93, v90
	v_mul_f16_e32 v90, v89, v90
	s_delay_alu instid0(VALU_DEP_2) | instskip(NEXT) | instid1(VALU_DEP_2)
	v_fma_f16 v91, v89, v92, -v91
	v_fmac_f16_e32 v90, v93, v92
	global_load_b32 v93, v107, s[2:3] offset:33600
	v_add_nc_u32_e32 v89, 64, v107
	v_pack_b32_f16 v83, v91, v90
	ds_load_2addr_stride64_b32 v[94:95], v89 offset0:131 offset1:138
	ds_store_2addr_stride64_b32 v85, v71, v83 offset0:87 offset1:94
	s_wait_dscnt 0x1
	v_lshrrev_b32_e32 v97, 16, v94
	s_wait_loadcnt 0x0
	v_lshrrev_b32_e32 v96, 16, v93
	s_delay_alu instid0(VALU_DEP_1) | instskip(NEXT) | instid1(VALU_DEP_3)
	v_mul_f16_e32 v92, v94, v96
	v_mul_f16_e32 v96, v97, v96
	s_delay_alu instid0(VALU_DEP_2) | instskip(NEXT) | instid1(VALU_DEP_2)
	v_fmac_f16_e32 v92, v97, v93
	v_fma_f16 v93, v94, v93, -v96
	global_load_b32 v96, v107, s[2:3] offset:35392
	v_lshrrev_b32_e32 v97, 16, v95
	v_pack_b32_f16 v71, v93, v92
	s_wait_loadcnt 0x0
	v_lshrrev_b32_e32 v94, 16, v96
	s_delay_alu instid0(VALU_DEP_1) | instskip(SKIP_1) | instid1(VALU_DEP_2)
	v_mul_f16_e32 v98, v97, v94
	v_mul_f16_e32 v94, v95, v94
	v_fma_f16 v95, v95, v96, -v98
	s_delay_alu instid0(VALU_DEP_2)
	v_fmac_f16_e32 v94, v97, v96
	global_load_b32 v97, v107, s[2:3] offset:3584
	ds_load_2addr_stride64_b32 v[98:99], v107 offset0:14 offset1:21
	v_pack_b32_f16 v83, v95, v94
	ds_store_2addr_stride64_b32 v89, v71, v83 offset0:131 offset1:138
	s_wait_dscnt 0x1
	v_lshrrev_b32_e32 v101, 16, v98
	s_wait_loadcnt 0x0
	v_lshrrev_b32_e32 v100, 16, v97
	s_delay_alu instid0(VALU_DEP_1) | instskip(NEXT) | instid1(VALU_DEP_3)
	v_mul_f16_e32 v96, v98, v100
	v_mul_f16_e32 v100, v101, v100
	s_delay_alu instid0(VALU_DEP_2) | instskip(NEXT) | instid1(VALU_DEP_2)
	v_fmac_f16_e32 v96, v101, v97
	v_fma_f16 v97, v98, v97, -v100
	global_load_b32 v100, v107, s[2:3] offset:5376
	v_lshrrev_b32_e32 v101, 16, v99
	v_pack_b32_f16 v69, v97, v96
	ds_store_2addr_stride64_b32 v107, v68, v69 offset0:7 offset1:14
	s_wait_loadcnt 0x0
	v_lshrrev_b32_e32 v98, 16, v100
	s_delay_alu instid0(VALU_DEP_1) | instskip(SKIP_1) | instid1(VALU_DEP_2)
	v_mul_f16_e32 v102, v101, v98
	v_mul_f16_e32 v98, v99, v98
	v_fma_f16 v99, v99, v100, -v102
	s_delay_alu instid0(VALU_DEP_2) | instskip(SKIP_3) | instid1(VALU_DEP_1)
	v_fmac_f16_e32 v98, v101, v100
	global_load_b32 v101, v107, s[2:3] offset:14784
	s_wait_loadcnt 0x0
	v_lshrrev_b32_e32 v102, 16, v101
	v_mul_f16_e32 v100, v122, v102
	v_mul_f16_e32 v102, v104, v102
	s_delay_alu instid0(VALU_DEP_2) | instskip(SKIP_2) | instid1(VALU_DEP_1)
	v_fmac_f16_e32 v100, v104, v101
	global_load_b32 v104, v107, s[2:3] offset:16576
	v_fma_f16 v101, v122, v101, -v102
	v_pack_b32_f16 v68, v101, v100
	s_wait_loadcnt 0x0
	v_lshrrev_b32_e32 v102, 16, v104
	s_delay_alu instid0(VALU_DEP_1) | instskip(SKIP_1) | instid1(VALU_DEP_2)
	v_mul_f16_e32 v122, v105, v102
	v_mul_f16_e32 v102, v123, v102
	v_fma_f16 v122, v123, v104, -v122
	s_delay_alu instid0(VALU_DEP_2)
	v_fmac_f16_e32 v102, v105, v104
	global_load_b32 v104, v107, s[2:3] offset:25984
	v_pack_b32_f16 v69, v122, v102
	ds_store_2addr_stride64_b32 v70, v68, v69 offset0:57 offset1:64
	s_wait_loadcnt 0x0
	v_lshrrev_b32_e32 v105, 16, v104
	s_delay_alu instid0(VALU_DEP_1) | instskip(SKIP_1) | instid1(VALU_DEP_2)
	v_mul_f16_e64 v123, v143, v105
	v_mul_f16_e32 v105, v126, v105
	v_fmac_f16_e32 v123, v126, v104
	s_delay_alu instid0(VALU_DEP_2) | instskip(SKIP_4) | instid1(VALU_DEP_1)
	v_fma_f16 v126, v143, v104, -v105
	global_load_b32 v104, v107, s[2:3] offset:27776
	v_pack_b32_f16 v68, v126, v123
	s_wait_loadcnt 0x0
	v_lshrrev_b32_e32 v105, 16, v104
	v_mul_f16_e64 v128, v130, v105
	v_mul_f16_e64 v157, v144, v105
	s_delay_alu instid0(VALU_DEP_2) | instskip(NEXT) | instid1(VALU_DEP_2)
	v_fma_f16 v128, v144, v104, -v128
	v_fmac_f16_e64 v157, v130, v104
	global_load_b32 v104, v107, s[2:3] offset:37184
	ds_load_2addr_stride64_b32 v[143:144], v89 offset0:145 offset1:152
	v_pack_b32_f16 v69, v128, v157
	ds_store_2addr_stride64_b32 v85, v68, v69 offset0:101 offset1:108
	s_wait_dscnt 0x1
	v_lshrrev_b32_e32 v132, 16, v143
	v_lshrrev_b32_e32 v138, 16, v144
	s_wait_loadcnt 0x0
	v_lshrrev_b32_e32 v105, 16, v104
	s_delay_alu instid0(VALU_DEP_1) | instskip(SKIP_1) | instid1(VALU_DEP_2)
	v_mul_f16_e64 v130, v143, v105
	v_mul_f16_e64 v105, v132, v105
	v_fmac_f16_e64 v130, v132, v104
	s_delay_alu instid0(VALU_DEP_2) | instskip(SKIP_4) | instid1(VALU_DEP_1)
	v_fma_f16 v132, v143, v104, -v105
	global_load_b32 v104, v107, s[2:3] offset:38976
	v_pack_b32_f16 v68, v132, v130
	s_wait_loadcnt 0x0
	v_lshrrev_b32_e32 v105, 16, v104
	v_mul_f16_e64 v136, v138, v105
	v_mul_f16_e64 v134, v144, v105
	s_delay_alu instid0(VALU_DEP_2) | instskip(NEXT) | instid1(VALU_DEP_2)
	v_fma_f16 v136, v144, v104, -v136
	v_fmac_f16_e64 v134, v138, v104
	global_load_b32 v104, v107, s[2:3] offset:7168
	ds_load_2addr_stride64_b32 v[143:144], v107 offset0:28 offset1:35
	v_pack_b32_f16 v69, v136, v134
	ds_store_2addr_stride64_b32 v89, v68, v69 offset0:145 offset1:152
	v_pack_b32_f16 v68, v99, v98
	s_wait_dscnt 0x1
	v_lshrrev_b32_e32 v140, 16, v143
	v_lshrrev_b32_e32 v147, 16, v144
	s_wait_loadcnt 0x0
	v_lshrrev_b32_e32 v105, 16, v104
	s_delay_alu instid0(VALU_DEP_1) | instskip(SKIP_1) | instid1(VALU_DEP_2)
	v_mul_f16_e64 v138, v143, v105
	v_mul_f16_e64 v105, v140, v105
	v_fmac_f16_e64 v138, v140, v104
	s_delay_alu instid0(VALU_DEP_2)
	v_fma_f16 v140, v143, v104, -v105
	global_load_b32 v104, v107, s[2:3] offset:8960
	v_pack_b32_f16 v69, v140, v138
	ds_store_2addr_stride64_b32 v107, v68, v69 offset0:21 offset1:28
	s_wait_loadcnt 0x0
	v_lshrrev_b32_e32 v105, 16, v104
	s_delay_alu instid0(VALU_DEP_1) | instskip(SKIP_1) | instid1(VALU_DEP_2)
	v_mul_f16_e64 v148, v147, v105
	v_mul_f16_e64 v143, v144, v105
	v_fma_f16 v144, v144, v104, -v148
	s_delay_alu instid0(VALU_DEP_2)
	v_fmac_f16_e64 v143, v147, v104
	global_load_b32 v104, v107, s[2:3] offset:18368
	ds_load_2addr_stride64_b32 v[147:148], v70 offset0:71 offset1:78
	s_wait_dscnt 0x0
	v_lshrrev_b32_e32 v150, 16, v147
	s_wait_loadcnt 0x0
	v_lshrrev_b32_e32 v105, 16, v104
	s_delay_alu instid0(VALU_DEP_1) | instskip(NEXT) | instid1(VALU_DEP_3)
	v_mul_f16_e64 v153, v147, v105
	v_mul_f16_e64 v105, v150, v105
	s_delay_alu instid0(VALU_DEP_2) | instskip(NEXT) | instid1(VALU_DEP_2)
	v_fmac_f16_e64 v153, v150, v104
	v_fma_f16 v104, v147, v104, -v105
	global_load_b32 v105, v107, s[2:3] offset:20160
	v_lshrrev_b32_e32 v150, 16, v148
	v_pack_b32_f16 v68, v104, v153
	s_wait_loadcnt 0x0
	v_lshrrev_b32_e32 v147, 16, v105
	s_delay_alu instid0(VALU_DEP_1) | instskip(SKIP_1) | instid1(VALU_DEP_2)
	v_mul_f16_e64 v155, v150, v147
	v_mul_f16_e64 v156, v148, v147
	v_fma_f16 v155, v148, v105, -v155
	s_delay_alu instid0(VALU_DEP_2)
	v_fmac_f16_e64 v156, v150, v105
	global_load_b32 v105, v107, s[2:3] offset:29568
	ds_load_2addr_stride64_b32 v[147:148], v85 offset0:115 offset1:122
	v_pack_b32_f16 v69, v155, v156
	ds_store_2addr_stride64_b32 v70, v68, v69 offset0:71 offset1:78
	s_wait_dscnt 0x1
	v_lshrrev_b32_e32 v194, 16, v147
	s_wait_loadcnt 0x0
	v_lshrrev_b32_e32 v150, 16, v105
	s_delay_alu instid0(VALU_DEP_1) | instskip(NEXT) | instid1(VALU_DEP_3)
	v_mul_f16_e64 v195, v147, v150
	v_mul_f16_e64 v150, v194, v150
	s_delay_alu instid0(VALU_DEP_2) | instskip(NEXT) | instid1(VALU_DEP_2)
	v_fmac_f16_e64 v195, v194, v105
	v_fma_f16 v105, v147, v105, -v150
	global_load_b32 v147, v107, s[2:3] offset:31360
	v_lshrrev_b32_e32 v194, 16, v148
	v_pack_b32_f16 v68, v105, v195
	s_wait_loadcnt 0x0
	v_lshrrev_b32_e32 v150, 16, v147
	s_delay_alu instid0(VALU_DEP_1) | instskip(SKIP_1) | instid1(VALU_DEP_2)
	v_mul_f16_e64 v198, v194, v150
	v_mul_f16_e64 v150, v148, v150
	v_fma_f16 v198, v148, v147, -v198
	s_delay_alu instid0(VALU_DEP_2)
	v_fmac_f16_e64 v150, v194, v147
	global_load_b32 v194, v107, s[2:3] offset:40768
	ds_load_2addr_stride64_b32 v[147:148], v89 offset0:159 offset1:166
	v_pack_b32_f16 v69, v198, v150
	ds_store_2addr_stride64_b32 v85, v68, v69 offset0:115 offset1:122
	s_wait_dscnt 0x1
	v_lshrrev_b32_e32 v200, 16, v147
	s_wait_loadcnt 0x0
	v_lshrrev_b32_e32 v199, 16, v194
	s_delay_alu instid0(VALU_DEP_1) | instskip(NEXT) | instid1(VALU_DEP_3)
	v_mul_f16_e64 v201, v147, v199
	v_mul_f16_e64 v199, v200, v199
	s_delay_alu instid0(VALU_DEP_2) | instskip(NEXT) | instid1(VALU_DEP_2)
	v_fmac_f16_e64 v201, v200, v194
	v_fma_f16 v147, v147, v194, -v199
	global_load_b32 v194, v107, s[2:3] offset:42560
	v_lshrrev_b32_e32 v200, 16, v148
	v_pack_b32_f16 v68, v147, v201
	s_wait_loadcnt 0x0
	v_lshrrev_b32_e32 v199, 16, v194
	s_delay_alu instid0(VALU_DEP_1) | instskip(SKIP_1) | instid1(VALU_DEP_2)
	v_mul_f16_e64 v203, v200, v199
	v_mul_f16_e64 v199, v148, v199
	v_fma_f16 v148, v148, v194, -v203
	s_delay_alu instid0(VALU_DEP_2) | instskip(NEXT) | instid1(VALU_DEP_1)
	v_fmac_f16_e64 v199, v200, v194
	v_pack_b32_f16 v69, v148, v199
	ds_store_2addr_stride64_b32 v89, v68, v69 offset0:159 offset1:166
	v_pack_b32_f16 v68, v144, v143
	ds_store_b32 v107, v68 offset:8960
	s_and_saveexec_b32 s10, vcc_lo
	s_cbranch_execz .LBB0_17
; %bb.16:
	s_wait_alu 0xfffe
	v_add_co_u32 v68, s2, s2, v107
	s_wait_alu 0xf1ff
	v_add_co_ci_u32_e64 v69, null, s3, 0, s2
	ds_load_b32 v71, v107 offset:10752
	global_load_b32 v84, v[68:69], off offset:10752
	s_wait_dscnt 0x0
	v_lshrrev_b32_e32 v83, 16, v71
	s_wait_loadcnt 0x0
	v_lshrrev_b32_e32 v86, 16, v84
	s_delay_alu instid0(VALU_DEP_1) | instskip(NEXT) | instid1(VALU_DEP_1)
	v_mul_f16_e32 v87, v83, v86
	v_fma_f16 v87, v71, v84, -v87
	v_mul_f16_e32 v71, v71, v86
	s_delay_alu instid0(VALU_DEP_1)
	v_fmac_f16_e32 v71, v83, v84
	global_load_b32 v84, v[68:69], off offset:21952
	v_pack_b32_f16 v71, v87, v71
	ds_store_b32 v107, v71 offset:10752
	ds_load_b32 v71, v107 offset:21952
	s_wait_dscnt 0x0
	v_lshrrev_b32_e32 v83, 16, v71
	s_wait_loadcnt 0x0
	v_lshrrev_b32_e32 v86, 16, v84
	s_delay_alu instid0(VALU_DEP_1) | instskip(NEXT) | instid1(VALU_DEP_1)
	v_mul_f16_e32 v87, v83, v86
	v_fma_f16 v87, v71, v84, -v87
	v_mul_f16_e32 v71, v71, v86
	s_delay_alu instid0(VALU_DEP_1)
	v_fmac_f16_e32 v71, v83, v84
	s_clause 0x1
	global_load_b32 v84, v[68:69], off offset:33152
	global_load_b32 v68, v[68:69], off offset:44352
	v_pack_b32_f16 v71, v87, v71
	ds_store_b32 v107, v71 offset:21952
	ds_load_b32 v71, v107 offset:33152
	s_wait_dscnt 0x0
	v_lshrrev_b32_e32 v83, 16, v71
	s_wait_loadcnt 0x1
	v_lshrrev_b32_e32 v86, 16, v84
	s_wait_loadcnt 0x0
	v_lshrrev_b32_e32 v69, 16, v68
	s_delay_alu instid0(VALU_DEP_2) | instskip(NEXT) | instid1(VALU_DEP_1)
	v_mul_f16_e32 v87, v83, v86
	v_fma_f16 v87, v71, v84, -v87
	v_mul_f16_e32 v71, v71, v86
	s_delay_alu instid0(VALU_DEP_1) | instskip(NEXT) | instid1(VALU_DEP_1)
	v_fmac_f16_e32 v71, v83, v84
	v_pack_b32_f16 v71, v87, v71
	ds_store_b32 v107, v71 offset:33152
	ds_load_b32 v71, v107 offset:44352
	s_wait_dscnt 0x0
	v_lshrrev_b32_e32 v83, 16, v71
	s_delay_alu instid0(VALU_DEP_1) | instskip(SKIP_1) | instid1(VALU_DEP_2)
	v_mul_f16_e32 v84, v83, v69
	v_mul_f16_e32 v69, v71, v69
	v_fma_f16 v84, v71, v68, -v84
	s_delay_alu instid0(VALU_DEP_2) | instskip(NEXT) | instid1(VALU_DEP_1)
	v_fmac_f16_e32 v69, v83, v68
	v_pack_b32_f16 v68, v84, v69
	ds_store_b32 v107, v68 offset:44352
.LBB0_17:
	s_wait_alu 0xfffe
	s_or_b32 exec_lo, exec_lo, s10
	global_wb scope:SCOPE_SE
	s_wait_dscnt 0x0
	s_barrier_signal -1
	s_barrier_wait -1
	global_inv scope:SCOPE_SE
	ds_load_2addr_stride64_b32 v[97:98], v107 offset1:7
	ds_load_2addr_stride64_b32 v[95:96], v70 offset0:43 offset1:50
	ds_load_2addr_stride64_b32 v[99:100], v85 offset0:87 offset1:94
	;; [unrolled: 1-line block ×11, first 2 shown]
	v_add_nc_u32_e32 v122, 0x8c00, v103
	s_and_saveexec_b32 s2, vcc_lo
	s_cbranch_execz .LBB0_19
; %bb.18:
	ds_load_b32 v120, v107 offset:10752
	ds_load_b32 v169, v107 offset:21952
	;; [unrolled: 1-line block ×4, first 2 shown]
	s_wait_dscnt 0x3
	v_lshrrev_b32_e32 v118, 16, v120
	s_wait_dscnt 0x2
	v_lshrrev_b32_e32 v106, 16, v169
	;; [unrolled: 2-line block ×4, first 2 shown]
.LBB0_19:
	s_wait_alu 0xfffe
	s_or_b32 exec_lo, exec_lo, s2
	s_wait_dscnt 0x9
	v_pk_add_f16 v99, v97, v99 neg_lo:[0,1] neg_hi:[0,1]
	s_wait_dscnt 0x8
	v_pk_add_f16 v101, v95, v101 neg_lo:[0,1] neg_hi:[0,1]
	v_pk_add_f16 v128, v98, v100 neg_lo:[0,1] neg_hi:[0,1]
	;; [unrolled: 1-line block ×3, first 2 shown]
	global_wb scope:SCOPE_SE
	s_wait_dscnt 0x0
	v_lshrrev_b32_e32 v104, 16, v99
	v_lshrrev_b32_e32 v105, 16, v101
	v_pk_fma_f16 v97, v97, 2.0, v99 op_sel_hi:[1,0,1] neg_lo:[0,0,1] neg_hi:[0,0,1]
	v_pk_fma_f16 v95, v95, 2.0, v101 op_sel_hi:[1,0,1] neg_lo:[0,0,1] neg_hi:[0,0,1]
	s_barrier_signal -1
	v_sub_f16_e32 v123, v104, v101
	v_add_f16_e32 v105, v99, v105
	s_barrier_wait -1
	v_pk_add_f16 v101, v97, v95 neg_lo:[0,1] neg_hi:[0,1]
	global_inv scope:SCOPE_SE
	v_fma_f16 v100, v104, 2.0, -v123
	v_fma_f16 v95, v99, 2.0, -v105
	v_pack_b32_f16 v102, v105, v123
	v_pk_fma_f16 v99, v97, 2.0, v101 op_sel_hi:[1,0,1] neg_lo:[0,0,1] neg_hi:[0,0,1]
	v_lshrrev_b32_e32 v104, 16, v126
	v_lshrrev_b32_e32 v97, 16, v128
	v_pack_b32_f16 v100, v95, v100
	v_pk_fma_f16 v98, v98, 2.0, v128 op_sel_hi:[1,0,1] neg_lo:[0,0,1] neg_hi:[0,0,1]
	v_pk_fma_f16 v96, v96, 2.0, v126 op_sel_hi:[1,0,1] neg_lo:[0,0,1] neg_hi:[0,0,1]
	v_add_f16_e64 v95, v128, v104
	v_sub_f16_e32 v104, v97, v126
	ds_store_b128 v103, v[99:102]
	scratch_load_b32 v103, off, off offset:20 th:TH_LOAD_LU ; 4-byte Folded Reload
	v_pk_add_f16 v96, v98, v96 neg_lo:[0,1] neg_hi:[0,1]
	v_fma_f16 v99, v128, 2.0, -v95
	v_fma_f16 v100, v97, 2.0, -v104
	v_pk_add_f16 v93, v83, v93 neg_lo:[0,1] neg_hi:[0,1]
	v_pack_b32_f16 v97, v95, v104
	v_pk_add_f16 v92, v88, v92 neg_lo:[0,1] neg_hi:[0,1]
	v_pk_add_f16 v91, v87, v91 neg_lo:[0,1] neg_hi:[0,1]
	v_pack_b32_f16 v95, v99, v100
	v_pk_add_f16 v99, v84, v94 neg_lo:[0,1] neg_hi:[0,1]
	v_pk_fma_f16 v94, v98, 2.0, v96 op_sel_hi:[1,0,1] neg_lo:[0,0,1] neg_hi:[0,0,1]
	v_lshrrev_b32_e32 v101, 16, v93
	v_pk_fma_f16 v105, v88, 2.0, v92 op_sel_hi:[1,0,1] neg_lo:[0,0,1] neg_hi:[0,0,1]
	v_lshrrev_b32_e32 v100, 16, v91
	v_pk_fma_f16 v84, v84, 2.0, v99 op_sel_hi:[1,0,1] neg_lo:[0,0,1] neg_hi:[0,0,1]
	v_pk_add_f16 v89, v70, v89 neg_lo:[0,1] neg_hi:[0,1]
	v_add_f16_e32 v98, v91, v101
	v_lshrrev_b32_e32 v101, 16, v99
	v_sub_f16_e32 v102, v100, v93
	v_pk_add_f16 v85, v68, v85 neg_lo:[0,1] neg_hi:[0,1]
	v_pk_fma_f16 v104, v87, 2.0, v91 op_sel_hi:[1,0,1] neg_lo:[0,0,1] neg_hi:[0,0,1]
	v_lshrrev_b32_e32 v87, 16, v89
	v_add_f16_e32 v101, v92, v101
	v_pk_fma_f16 v83, v83, 2.0, v93 op_sel_hi:[1,0,1] neg_lo:[0,0,1] neg_hi:[0,0,1]
	v_fma_f16 v100, v100, 2.0, -v102
	v_pk_add_f16 v86, v69, v86 neg_lo:[0,1] neg_hi:[0,1]
	v_pk_add_f16 v90, v71, v90 neg_lo:[0,1] neg_hi:[0,1]
	v_fma_f16 v123, v92, 2.0, -v101
	v_pk_fma_f16 v70, v70, 2.0, v89 op_sel_hi:[1,0,1] neg_lo:[0,0,1] neg_hi:[0,0,1]
	v_sub_f16_e64 v132, v118, v110
	v_pk_fma_f16 v68, v68, 2.0, v85 op_sel_hi:[1,0,1] neg_lo:[0,0,1] neg_hi:[0,0,1]
	v_pk_fma_f16 v71, v71, 2.0, v90 op_sel_hi:[1,0,1] neg_lo:[0,0,1] neg_hi:[0,0,1]
	;; [unrolled: 1-line block ×3, first 2 shown]
	s_wait_loadcnt 0x0
	ds_store_b128 v103, v[94:97]
	v_lshrrev_b32_e32 v97, 16, v92
	v_sub_f16_e32 v95, v120, v111
	v_sub_f16_e32 v96, v106, v115
	v_fma_f16 v94, v91, 2.0, -v98
	v_add_f16_e32 v115, v85, v87
	v_sub_f16_e32 v103, v97, v99
	v_pk_add_f16 v99, v105, v84 neg_lo:[0,1] neg_hi:[0,1]
	scratch_load_b32 v84, off, off offset:8 th:TH_LOAD_LU ; 4-byte Folded Reload
	v_add_f16_e32 v126, v96, v95
	v_fma_f16 v92, v120, 2.0, -v95
	v_fma_f16 v106, v106, 2.0, -v96
	v_pack_b32_f16 v96, v98, v102
	v_pack_b32_f16 v94, v94, v100
	v_fma_f16 v87, v95, 2.0, -v126
	v_pk_add_f16 v95, v104, v83 neg_lo:[0,1] neg_hi:[0,1]
	v_fma_f16 v83, v97, 2.0, -v103
	v_pack_b32_f16 v100, v101, v103
	v_pk_fma_f16 v97, v105, 2.0, v99 op_sel_hi:[1,0,1] neg_lo:[0,0,1] neg_hi:[0,0,1]
	v_sub_f16_e64 v111, v169, v114
	v_pk_fma_f16 v93, v104, 2.0, v95 op_sel_hi:[1,0,1] neg_lo:[0,0,1] neg_hi:[0,0,1]
	v_pack_b32_f16 v98, v123, v83
	v_lshrrev_b32_e32 v114, 16, v85
	v_lshrrev_b32_e32 v91, 16, v90
	v_fma_f16 v88, v169, 2.0, -v111
	v_fma_f16 v85, v85, 2.0, -v115
	v_pk_add_f16 v103, v68, v70 neg_lo:[0,1] neg_hi:[0,1]
	v_sub_f16_e32 v120, v114, v89
	v_lshrrev_b32_e32 v89, 16, v86
	v_add_f16_e32 v91, v86, v91
	v_sub_f16_e32 v88, v92, v88
	v_sub_f16_e64 v128, v132, v111
	v_fma_f16 v102, v114, 2.0, -v120
	v_sub_f16_e64 v134, v89, v90
	v_fma_f16 v90, v118, 2.0, -v132
	v_pk_add_f16 v70, v69, v71 neg_lo:[0,1] neg_hi:[0,1]
	v_fma_f16 v83, v86, 2.0, -v91
	v_fma_f16 v92, v92, 2.0, -v88
	;; [unrolled: 1-line block ×3, first 2 shown]
	v_sub_f16_e64 v130, v90, v106
	v_pack_b32_f16 v104, v115, v120
	v_pk_fma_f16 v101, v68, 2.0, v103 op_sel_hi:[1,0,1] neg_lo:[0,0,1] neg_hi:[0,0,1]
	v_pack_b32_f16 v102, v85, v102
	v_fma_f16 v136, v132, 2.0, -v128
	v_fma_f16 v138, v90, 2.0, -v130
	v_pk_fma_f16 v68, v69, 2.0, v70 op_sel_hi:[1,0,1] neg_lo:[0,0,1] neg_hi:[0,0,1]
	v_pack_b32_f16 v71, v91, v134
	v_pack_b32_f16 v69, v83, v110
	s_wait_loadcnt 0x0
	ds_store_b128 v84, v[93:96]
	scratch_load_b32 v84, off, off offset:12 th:TH_LOAD_LU ; 4-byte Folded Reload
	s_wait_loadcnt 0x0
	ds_store_b128 v84, v[97:100]
	scratch_load_b32 v84, off, off th:TH_LOAD_LU ; 4-byte Folded Reload
	s_wait_loadcnt 0x0
	ds_store_b128 v84, v[101:104]
	ds_store_b128 v122, v[68:71]
	s_and_saveexec_b32 s2, vcc_lo
	s_cbranch_execz .LBB0_21
; %bb.20:
	scratch_load_b32 v68, off, off offset:16 th:TH_LOAD_LU ; 4-byte Folded Reload
	v_perm_b32 v96, v128, v126, 0x5040100
	v_perm_b32 v95, v130, v88, 0x5040100
	;; [unrolled: 1-line block ×4, first 2 shown]
	s_wait_loadcnt 0x0
	ds_store_b128 v68, v[93:96]
.LBB0_21:
	s_wait_alu 0xfffe
	s_or_b32 exec_lo, exec_lo, s2
	global_wb scope:SCOPE_SE
	s_wait_dscnt 0x0
	s_barrier_signal -1
	s_barrier_wait -1
	global_inv scope:SCOPE_SE
	ds_load_2addr_stride64_b32 v[85:86], v107 offset1:7
	ds_load_2addr_stride64_b32 v[68:69], v107 offset0:14 offset1:25
	ds_load_2addr_stride64_b32 v[105:106], v107 offset0:50 offset1:57
	;; [unrolled: 1-line block ×9, first 2 shown]
	ds_load_b32 v132, v107 offset:41984
	s_and_saveexec_b32 s2, s1
	s_cbranch_execz .LBB0_23
; %bb.22:
	ds_load_2addr_stride64_b32 v[83:84], v107 offset0:21 offset1:46
	ds_load_2addr_stride64_b32 v[91:92], v107 offset0:71 offset1:96
	;; [unrolled: 1-line block ×3, first 2 shown]
	ds_load_b32 v126, v107 offset:43776
	s_wait_dscnt 0x3
	v_lshrrev_b32_e32 v110, 16, v83
	s_wait_dscnt 0x2
	v_lshrrev_b32_e32 v134, 16, v91
	v_lshrrev_b32_e32 v138, 16, v92
	s_wait_dscnt 0x1
	v_lshrrev_b32_e32 v136, 16, v87
	;; [unrolled: 3-line block ×3, first 2 shown]
	v_mov_b32_e32 v70, v84
.LBB0_23:
	s_wait_alu 0xfffe
	s_or_b32 exec_lo, exec_lo, s2
	s_wait_dscnt 0x8
	v_lshrrev_b32_e32 v115, 16, v105
	v_lshrrev_b32_e32 v140, 16, v70
	;; [unrolled: 1-line block ×3, first 2 shown]
	s_wait_dscnt 0x7
	v_lshrrev_b32_e32 v148, 16, v103
	v_mul_f16_e64 v120, v188, v105
	v_mul_f16_e64 v144, v188, v115
	;; [unrolled: 1-line block ×4, first 2 shown]
	v_lshrrev_b32_e32 v123, 16, v104
	s_wait_dscnt 0x2
	v_lshrrev_b32_e32 v153, 16, v101
	v_fmac_f16_e64 v144, v1, v105
	v_mul_f16_e64 v105, v188, v148
	v_lshrrev_b32_e32 v155, 16, v102
	v_mul_f16_e64 v84, v187, v138
	v_fmac_f16_e32 v71, v0, v70
	v_mul_f16_e64 v143, v184, v70
	v_fmac_f16_e32 v111, v1, v106
	v_mul_f16_e64 v122, v188, v106
	v_mul_f16_e64 v147, v187, v123
	v_fmac_f16_e32 v105, v1, v103
	v_mul_f16_e64 v150, v188, v103
	v_mul_f16_e64 v106, v187, v153
	v_mul_f16_e64 v103, v187, v155
	v_mul_f16_e64 v70, v188, v134
	v_fmac_f16_e32 v84, v2, v92
	v_mul_f16_e64 v157, v187, v92
	v_lshrrev_b32_e32 v92, 16, v99
	v_lshrrev_b32_e32 v169, 16, v100
	v_fmac_f16_e64 v147, v2, v104
	v_mul_f16_e64 v104, v187, v104
	v_fmac_f16_e32 v106, v2, v101
	v_fmac_f16_e32 v103, v2, v102
	v_mul_f16_e64 v156, v187, v101
	v_mul_f16_e64 v102, v187, v102
	v_fmac_f16_e32 v70, v1, v91
	v_mul_f16_e64 v91, v188, v91
	v_mul_f16_e64 v114, v184, v92
	v_mul_f16_e64 v101, v184, v169
	v_lshrrev_b32_e32 v187, 16, v69
	v_mul_f16_e64 v188, v184, v69
	v_fma_f16 v194, v2, v123, -v104
	v_fmac_f16_e32 v114, v0, v99
	v_fmac_f16_e32 v101, v0, v100
	v_mul_f16_e64 v99, v184, v99
	v_mul_f16_e64 v100, v184, v100
	;; [unrolled: 1-line block ×3, first 2 shown]
	v_fma_f16 v187, v0, v187, -v188
	v_fma_f16 v188, v1, v115, -v120
	v_lshrrev_b32_e32 v104, 16, v97
	v_lshrrev_b32_e32 v120, 16, v98
	v_fma_f16 v123, v0, v92, -v99
	v_fma_f16 v122, v1, v118, -v122
	;; [unrolled: 1-line block ×3, first 2 shown]
	v_mul_f16_e64 v195, v181, v104
	v_mul_f16_e64 v115, v181, v120
	v_fma_f16 v99, v1, v148, -v150
	v_fma_f16 v91, v1, v134, -v91
	;; [unrolled: 1-line block ×3, first 2 shown]
	v_fmac_f16_e64 v195, v3, v97
	v_fmac_f16_e32 v115, v3, v98
	v_mul_f16_e64 v97, v181, v97
	v_mul_f16_e64 v98, v181, v98
	v_fma_f16 v100, v0, v169, -v100
	v_fma_f16 v92, v0, v140, -v143
	v_fmac_f16_e64 v184, v0, v69
	v_fma_f16 v198, v3, v104, -v97
	v_fma_f16 v120, v3, v120, -v98
	;; [unrolled: 1-line block ×3, first 2 shown]
	v_lshrrev_b32_e32 v2, 16, v95
	v_mul_f16_e64 v97, v181, v95
	v_mul_f16_e64 v0, v177, v130
	;; [unrolled: 1-line block ×5, first 2 shown]
	v_fma_f16 v102, v3, v2, -v97
	v_mul_f16_e64 v2, v181, v87
	v_mul_f16_e64 v97, v181, v136
	v_fmac_f16_e32 v0, v81, v88
	v_fmac_f16_e32 v104, v3, v95
	v_lshrrev_b32_e32 v88, 16, v89
	v_fma_f16 v2, v3, v136, -v2
	v_fmac_f16_e32 v97, v3, v87
	v_lshrrev_b32_e32 v3, 16, v96
	s_wait_dscnt 0x1
	v_lshrrev_b32_e32 v136, 16, v94
	v_lshrrev_b32_e32 v143, 16, v90
	v_mul_f16_e64 v140, v174, v88
	global_wb scope:SCOPE_SE
	s_wait_dscnt 0x0
	v_mul_f16_e64 v95, v177, v3
	v_mul_f16_e64 v87, v177, v136
	v_mul_f16_e64 v148, v174, v143
	v_fmac_f16_e64 v140, v82, v89
	v_mul_f16_e64 v89, v174, v89
	v_fmac_f16_e32 v95, v81, v96
	v_lshrrev_b32_e32 v96, 16, v93
	v_fmac_f16_e32 v87, v81, v94
	v_mul_f16_e64 v94, v177, v94
	v_fmac_f16_e64 v148, v82, v90
	v_mul_f16_e64 v90, v174, v90
	v_mul_f16_e64 v134, v177, v96
	v_fma_f16 v150, v81, v3, -v69
	v_lshrrev_b32_e32 v3, 16, v132
	v_mul_f16_e64 v69, v174, v132
	v_fma_f16 v153, v82, v88, -v89
	v_fmac_f16_e64 v134, v81, v93
	v_mul_f16_e64 v93, v177, v93
	v_fma_f16 v88, v81, v136, -v94
	v_mul_f16_e64 v89, v174, v3
	v_sub_f16_e64 v94, v184, v140
	v_sub_f16_e64 v136, v188, v150
	v_fma_f16 v93, v81, v96, -v93
	v_fma_f16 v96, v82, v143, -v90
	;; [unrolled: 1-line block ×4, first 2 shown]
	v_mul_f16_e64 v69, v174, v128
	v_mul_f16_e64 v81, v174, v126
	v_fmac_f16_e64 v89, v82, v132
	v_add_f16_e64 v130, v144, v95
	v_add_f16_e64 v132, v188, v150
	v_fmac_f16_e32 v69, v82, v126
	v_fma_f16 v81, v82, v128, -v81
	v_add_f16_e64 v82, v184, v140
	v_add_f16_e64 v126, v187, v153
	;; [unrolled: 1-line block ×3, first 2 shown]
	v_sub_f16_e64 v140, v195, v147
	v_add_f16_e64 v143, v194, v198
	v_add_f16_e64 v147, v130, v82
	;; [unrolled: 1-line block ×3, first 2 shown]
	v_sub_f16_e64 v128, v187, v153
	v_lshrrev_b32_e32 v153, 16, v85
	v_sub_f16_e64 v95, v144, v95
	v_add_f16_e64 v147, v138, v147
	v_add_f16_e64 v150, v143, v150
	v_sub_f16_e64 v144, v198, v194
	v_sub_f16_e64 v155, v126, v143
	;; [unrolled: 1-line block ×3, first 2 shown]
	v_add_f16_e64 v85, v85, v147
	v_add_f16_e64 v153, v153, v150
	v_sub_f16_e64 v174, v144, v136
	v_sub_f16_e64 v143, v143, v132
	v_add_f16_e64 v156, v140, v95
	v_fma_f16 v147, 0xbcab, v147, v85
	v_fma_f16 v150, 0xbcab, v150, v153
	v_pack_b32_f16 v85, v85, v153
	v_sub_f16_e64 v153, v82, v138
	v_sub_f16_e64 v138, v138, v130
	;; [unrolled: 1-line block ×3, first 2 shown]
	v_add_f16_e64 v169, v144, v136
	v_sub_f16_e64 v144, v128, v144
	v_mul_f16_e64 v153, 0x3a52, v153
	v_mul_f16_e64 v155, 0x3a52, v155
	;; [unrolled: 1-line block ×4, first 2 shown]
	v_add_f16_e64 v156, v156, v94
	v_add_f16_e64 v169, v169, v128
	v_fma_f16 v177, 0x2b26, v138, v153
	v_fma_f16 v181, 0x2b26, v143, v155
	;; [unrolled: 1-line block ×4, first 2 shown]
	v_sub_f16_e32 v94, v95, v94
	v_add_f16_e64 v177, v177, v147
	v_add_f16_e64 v181, v181, v150
	v_fmac_f16_e64 v184, 0xb70e, v169
	v_fmac_f16_e64 v187, 0xb70e, v156
	v_sub_f16_e64 v95, v136, v128
	s_barrier_signal -1
	s_barrier_wait -1
	v_add_f16_e64 v188, v184, v177
	v_sub_f16_e64 v194, v181, v187
	global_inv scope:SCOPE_SE
	v_sub_f16_e64 v82, v130, v82
	v_mul_f16_e64 v128, 0x2b26, v143
	v_fma_f16 v130, v94, 0xbb00, -v157
	v_pack_b32_f16 v188, v188, v194
	v_mul_f16_e32 v94, 0xbb00, v94
	s_delay_alu instid0(VALU_DEP_3)
	v_fmac_f16_e64 v130, 0xb70e, v156
	ds_store_2addr_b32 v197, v85, v188 offset1:4
	v_sub_f16_e64 v85, v132, v126
	v_mul_f16_e64 v126, 0x2b26, v138
	v_fma_f16 v132, v95, 0xbb00, -v174
	v_mul_f16_e32 v95, 0xbb00, v95
	v_fma_f16 v94, v140, 0x3574, -v94
	v_fma_f16 v128, v85, 0x39e0, -v128
	v_fma_f16 v126, v82, 0x39e0, -v126
	v_fma_f16 v82, v82, 0xb9e0, -v153
	v_fma_f16 v85, v85, 0xb9e0, -v155
	v_fma_f16 v95, v144, 0x3574, -v95
	v_fmac_f16_e64 v94, 0xb70e, v156
	v_add_f16_e64 v126, v126, v147
	v_add_f16_e64 v82, v82, v147
	;; [unrolled: 1-line block ×3, first 2 shown]
	v_fmac_f16_e64 v95, 0xb70e, v169
	v_add_f16_e64 v128, v128, v150
	v_fmac_f16_e64 v132, 0xb70e, v169
	s_delay_alu instid0(VALU_DEP_4) | instskip(NEXT) | instid1(VALU_DEP_4)
	v_sub_f16_e64 v138, v85, v94
	v_add_f16_e64 v136, v95, v82
	s_delay_alu instid0(VALU_DEP_4)
	v_add_f16_e64 v140, v130, v128
	v_sub_f16_e64 v128, v128, v130
	v_sub_f16_e32 v82, v82, v95
	v_add_f16_e32 v85, v94, v85
	v_pack_b32_f16 v136, v136, v138
	v_sub_f16_e64 v138, v126, v132
	v_add_f16_e64 v126, v132, v126
	v_sub_f16_e32 v95, v123, v96
	v_pack_b32_f16 v82, v82, v85
	v_add_f16_e64 v85, v187, v181
	v_pack_b32_f16 v138, v138, v140
	v_pack_b32_f16 v94, v126, v128
	ds_store_2addr_b32 v197, v136, v138 offset0:8 offset1:12
	ds_store_2addr_b32 v197, v94, v82 offset0:16 offset1:20
	v_sub_f16_e64 v82, v177, v184
	v_add_f16_e32 v94, v123, v96
	v_add_f16_e64 v96, v111, v134
	v_lshrrev_b32_e32 v123, 16, v86
	v_sub_f16_e64 v111, v111, v134
	v_pack_b32_f16 v82, v82, v85
	v_sub_f16_e64 v85, v114, v148
	ds_store_b32 v197, v82 offset:96
	v_add_f16_e64 v82, v114, v148
	v_add_f16_e32 v114, v122, v93
	v_sub_f16_e32 v93, v122, v93
	v_add_f16_e32 v122, v106, v115
	v_sub_f16_e32 v106, v115, v106
	;; [unrolled: 2-line block ×3, first 2 shown]
	v_add_f16_e32 v120, v96, v82
	v_add_f16_e32 v126, v114, v94
	v_sub_f16_e64 v132, v106, v111
	v_sub_f16_e64 v128, v94, v115
	;; [unrolled: 1-line block ×3, first 2 shown]
	v_add_f16_e32 v120, v122, v120
	v_add_f16_e32 v126, v115, v126
	v_sub_f16_e32 v115, v115, v114
	v_add_f16_e64 v130, v106, v111
	v_sub_f16_e32 v106, v85, v106
	v_add_f16_e32 v86, v86, v120
	v_add_f16_e32 v123, v123, v126
	v_add_f16_e64 v134, v118, v93
	v_sub_f16_e32 v118, v95, v118
	v_mul_f16_e64 v128, 0x3a52, v128
	v_fmamk_f16 v120, v120, 0xbcab, v86
	v_fmamk_f16 v126, v126, 0xbcab, v123
	v_pack_b32_f16 v86, v86, v123
	v_sub_f16_e32 v123, v82, v122
	v_sub_f16_e32 v122, v122, v96
	v_mul_f16_e64 v132, 0x3846, v132
	v_mul_f16_e64 v136, 0x3846, v136
	v_add_f16_e64 v130, v130, v85
	v_mul_f16_e32 v123, 0x3a52, v123
	v_add_f16_e64 v134, v134, v95
	v_fma_f16 v140, 0x2b26, v115, v128
	v_fma_f16 v143, 0xb574, v118, v136
	;; [unrolled: 1-line block ×4, first 2 shown]
	v_sub_f16_e32 v85, v111, v85
	v_add_f16_e64 v140, v140, v126
	v_fmac_f16_e64 v143, 0xb70e, v134
	v_fmac_f16_e64 v144, 0xb70e, v130
	v_add_f16_e64 v138, v138, v120
	v_sub_f16_e32 v82, v96, v82
	v_sub_f16_e32 v93, v93, v95
	v_fma_f16 v96, v85, 0xbb00, -v132
	v_sub_f16_e64 v148, v140, v144
	v_add_f16_e64 v147, v143, v138
	v_mul_f16_e32 v85, 0xbb00, v85
	v_mul_f16_e32 v95, 0x2b26, v115
	v_fmac_f16_e64 v96, 0xb70e, v130
	v_sub_f16_e64 v115, v138, v143
	v_pack_b32_f16 v147, v147, v148
	v_fma_f16 v85, v106, 0x3574, -v85
	v_fma_f16 v106, v93, 0xbb00, -v136
	v_mul_f16_e32 v93, 0xbb00, v93
	ds_store_2addr_b32 v166, v86, v147 offset1:4
	v_sub_f16_e32 v86, v114, v94
	v_mul_f16_e32 v94, 0x2b26, v122
	v_fma_f16 v93, v118, 0x3574, -v93
	v_fmac_f16_e64 v85, 0xb70e, v130
	v_fmac_f16_e64 v106, 0xb70e, v134
	v_fma_f16 v95, v86, 0x39e0, -v95
	v_fma_f16 v94, v82, 0x39e0, -v94
	;; [unrolled: 1-line block ×4, first 2 shown]
	v_fmac_f16_e64 v93, 0xb70e, v134
	v_add_f16_e32 v95, v95, v126
	v_add_f16_e32 v94, v94, v120
	;; [unrolled: 1-line block ×4, first 2 shown]
	v_add_f16_e64 v118, v144, v140
	s_delay_alu instid0(VALU_DEP_4)
	v_sub_f16_e32 v111, v94, v106
	v_add_f16_e32 v94, v106, v94
	v_add_f16_e32 v106, v96, v95
	v_sub_f16_e32 v95, v95, v96
	v_add_f16_e32 v96, v93, v82
	v_sub_f16_e32 v82, v82, v93
	v_sub_f16_e32 v93, v86, v85
	v_add_f16_e32 v114, v85, v86
	v_add_f16_e32 v85, v101, v89
	v_sub_f16_e32 v86, v101, v89
	v_add_f16_e32 v89, v100, v90
	v_sub_f16_e32 v90, v100, v90
	v_add_f16_e32 v100, v105, v87
	v_add_f16_e32 v101, v99, v88
	v_sub_f16_e32 v87, v105, v87
	v_sub_f16_e32 v88, v99, v88
	v_add_f16_e32 v99, v103, v104
	v_sub_f16_e32 v103, v104, v103
	v_add_f16_e32 v104, v98, v102
	;; [unrolled: 2-line block ×3, first 2 shown]
	v_add_f16_e32 v120, v101, v89
	v_sub_f16_e32 v105, v100, v85
	v_sub_f16_e32 v85, v85, v99
	;; [unrolled: 1-line block ×3, first 2 shown]
	v_add_f16_e32 v99, v99, v102
	v_sub_f16_e32 v102, v101, v89
	v_sub_f16_e32 v89, v89, v104
	;; [unrolled: 1-line block ×3, first 2 shown]
	v_add_f16_e32 v104, v104, v120
	v_add_f16_e32 v120, v103, v87
	v_sub_f16_e32 v122, v103, v87
	v_sub_f16_e32 v103, v86, v103
	;; [unrolled: 1-line block ×4, first 2 shown]
	v_add_f16_e32 v86, v120, v86
	v_add_f16_e32 v120, v98, v88
	v_sub_f16_e32 v98, v90, v98
	v_sub_f16_e32 v88, v88, v90
	v_add_f16_e32 v126, v68, v99
	v_mul_f16_e32 v89, 0x3a52, v89
	v_add_f16_e32 v90, v120, v90
	v_lshrrev_b32_e32 v120, 16, v68
	v_mul_f16_e32 v68, 0x3a52, v85
	v_mul_f16_e32 v85, 0x2b26, v100
	v_fmamk_f16 v99, v99, 0xbcab, v126
	v_pack_b32_f16 v82, v82, v114
	s_delay_alu instid0(VALU_DEP_4) | instskip(NEXT) | instid1(VALU_DEP_4)
	v_fmamk_f16 v100, v100, 0x2b26, v68
	v_fma_f16 v85, v105, 0x39e0, -v85
	v_fma_f16 v68, v105, 0xb9e0, -v68
	v_mul_f16_e32 v105, 0x2b26, v101
	v_fmamk_f16 v101, v101, 0x2b26, v89
	v_fma_f16 v89, v102, 0xb9e0, -v89
	v_add_f16_e32 v100, v100, v99
	v_add_f16_e32 v85, v85, v99
	v_fma_f16 v105, v102, 0x39e0, -v105
	v_mul_f16_e32 v102, 0x3846, v122
	v_mul_f16_e32 v122, 0xbb00, v87
	v_add_f16_e32 v68, v68, v99
	v_add_f16_e32 v99, v120, v104
	s_delay_alu instid0(VALU_DEP_4)
	v_fma_f16 v87, v87, 0xbb00, -v102
	v_fmamk_f16 v102, v103, 0xb574, v102
	v_fma_f16 v103, v103, 0x3574, -v122
	v_mul_f16_e32 v122, 0x3846, v123
	v_mul_f16_e32 v123, 0xbb00, v88
	v_fmamk_f16 v104, v104, 0xbcab, v99
	v_fmac_f16_e32 v87, 0xb70e, v86
	v_fmac_f16_e32 v102, 0xb70e, v86
	v_fma_f16 v88, v88, 0xbb00, -v122
	v_fmamk_f16 v122, v98, 0xb574, v122
	v_fma_f16 v98, v98, 0x3574, -v123
	v_add_f16_e32 v101, v101, v104
	v_add_f16_e32 v105, v105, v104
	v_fmac_f16_e32 v88, 0xb70e, v90
	v_add_f16_e32 v89, v89, v104
	v_fmac_f16_e32 v98, 0xb70e, v90
	v_fmac_f16_e32 v103, 0xb70e, v86
	v_add_f16_e32 v123, v87, v105
	v_sub_f16_e32 v104, v85, v88
	v_add_f16_e32 v120, v88, v85
	v_add_f16_e64 v128, v98, v68
	v_sub_f16_e32 v98, v68, v98
	v_add_f16_e32 v68, v69, v71
	v_add_f16_e32 v85, v0, v70
	v_sub_f16_e32 v105, v105, v87
	v_sub_f16_e32 v69, v71, v69
	v_add_f16_e32 v71, v81, v92
	v_sub_f16_e32 v0, v70, v0
	v_add_f16_e32 v70, v3, v91
	v_add_f16_e32 v86, v97, v84
	v_sub_f16_e32 v84, v97, v84
	v_add_f16_e32 v87, v2, v1
	v_sub_f16_e32 v1, v2, v1
	v_add_f16_e32 v2, v85, v68
	v_fmac_f16_e32 v122, 0xb70e, v90
	v_sub_f16_e64 v130, v89, v103
	v_add_f16_e32 v103, v103, v89
	v_sub_f16_e32 v81, v92, v81
	v_sub_f16_e32 v3, v91, v3
	;; [unrolled: 1-line block ×5, first 2 shown]
	v_add_f16_e32 v89, v70, v71
	v_add_f16_e32 v90, v86, v2
	;; [unrolled: 1-line block ×3, first 2 shown]
	v_sub_f16_e32 v2, v70, v71
	v_sub_f16_e32 v71, v71, v87
	;; [unrolled: 1-line block ×3, first 2 shown]
	v_add_f16_e32 v87, v87, v89
	v_sub_f16_e32 v89, v84, v0
	v_sub_f16_e32 v84, v69, v84
	v_sub_f16_e32 v91, v0, v69
	v_add_f16_e32 v69, v86, v69
	v_add_f16_e32 v0, v1, v3
	v_sub_f16_e32 v86, v1, v3
	v_sub_f16_e32 v92, v81, v1
	;; [unrolled: 1-line block ×3, first 2 shown]
	v_mul_f16_e32 v1, 0x3a52, v68
	v_mul_f16_e32 v3, 0x2b26, v85
	v_add_f16_e64 v132, v122, v100
	v_sub_f16_e32 v100, v100, v122
	v_sub_f16_e32 v122, v101, v102
	v_add_f16_e32 v101, v102, v101
	v_fmamk_f16 v68, v85, 0x2b26, v1
	v_fma_f16 v102, v88, 0x39e0, -v3
	v_fma_f16 v134, v88, 0xb9e0, -v1
	v_mul_f16_e32 v1, 0x3a52, v71
	v_mul_f16_e32 v3, 0x2b26, v70
	v_add_f16_e32 v81, v0, v81
	v_add_f16_e32 v0, v83, v90
	v_pack_b32_f16 v98, v98, v103
	v_fmamk_f16 v70, v70, 0x2b26, v1
	v_fma_f16 v71, v2, 0x39e0, -v3
	v_fma_f16 v136, v2, 0xb9e0, -v1
	v_mul_f16_e32 v1, 0x3846, v89
	v_mul_f16_e32 v2, 0xbb00, v91
	v_fmamk_f16 v89, v90, 0xbcab, v0
	v_pack_b32_f16 v100, v100, v101
	s_delay_alu instid0(VALU_DEP_4)
	v_fma_f16 v3, v91, 0xbb00, -v1
	v_fmamk_f16 v1, v84, 0xb574, v1
	v_fma_f16 v83, v84, 0x3574, -v2
	v_mul_f16_e32 v84, 0x3846, v86
	v_mul_f16_e32 v86, 0xbb00, v97
	v_add_f16_e32 v88, v68, v89
	v_fmac_f16_e32 v1, 0xb70e, v69
	v_fmac_f16_e32 v3, 0xb70e, v69
	v_fma_f16 v2, v97, 0xbb00, -v84
	v_fmamk_f16 v85, v92, 0xb574, v84
	v_fma_f16 v84, v92, 0x3574, -v86
	v_add_f16_e32 v86, v110, v87
	v_fmac_f16_e32 v83, 0xb70e, v69
	v_pack_b32_f16 v69, v96, v93
	v_fmac_f16_e32 v2, 0xb70e, v81
	v_fmac_f16_e32 v85, 0xb70e, v81
	v_fmamk_f16 v92, v87, 0xbcab, v86
	v_add_f16_e32 v87, v102, v89
	v_add_f16_e64 v89, v134, v89
	v_fmac_f16_e32 v84, 0xb70e, v81
	v_pack_b32_f16 v93, v115, v118
	v_add_f16_e32 v90, v70, v92
	v_add_f16_e32 v91, v71, v92
	v_add_f16_e64 v92, v136, v92
	v_pack_b32_f16 v70, v111, v106
	v_pack_b32_f16 v71, v94, v95
	v_add_f16_e32 v68, v2, v87
	v_sub_f16_e32 v81, v89, v84
	v_pack_b32_f16 v94, v126, v99
	ds_store_2addr_b32 v166, v69, v70 offset0:8 offset1:12
	v_sub_f16_e32 v70, v91, v3
	ds_store_2addr_b32 v166, v71, v82 offset0:16 offset1:20
	v_add_f16_e32 v82, v83, v92
	v_sub_f16_e32 v69, v88, v85
	v_add_f16_e32 v71, v1, v90
	v_pack_b32_f16 v95, v132, v122
	v_pack_b32_f16 v96, v128, v130
	;; [unrolled: 1-line block ×4, first 2 shown]
	ds_store_b32 v166, v93 offset:96
	ds_store_2addr_b32 v170, v94, v95 offset1:4
	ds_store_2addr_b32 v170, v96, v97 offset0:8 offset1:12
	ds_store_2addr_b32 v170, v99, v98 offset0:16 offset1:20
	ds_store_b32 v170, v100 offset:96
	s_and_saveexec_b32 s2, s1
	s_cbranch_execz .LBB0_25
; %bb.24:
	scratch_load_b32 v93, off, off offset:24 th:TH_LOAD_LU ; 4-byte Folded Reload
	v_sub_f16_e32 v1, v90, v1
	v_add_f16_e32 v85, v85, v88
	v_add_f16_e32 v3, v3, v91
	v_sub_f16_e32 v83, v92, v83
	v_add_f16_e32 v84, v84, v89
	v_sub_f16_e32 v2, v87, v2
	v_perm_b32 v0, v86, v0, 0x5040100
	v_pack_b32_f16 v1, v85, v1
	v_perm_b32 v86, v71, v69, 0x5040100
	v_pack_b32_f16 v83, v84, v83
	v_pack_b32_f16 v2, v2, v3
	v_perm_b32 v3, v70, v68, 0x5040100
	v_perm_b32 v84, v82, v81, 0x5040100
	s_wait_loadcnt 0x0
	v_mul_u32_u24_e32 v93, 28, v93
	s_delay_alu instid0(VALU_DEP_1) | instskip(NEXT) | instid1(VALU_DEP_1)
	v_or_b32_e32 v88, v93, v159
	v_lshlrev_b32_e32 v85, 2, v88
	ds_store_2addr_b32 v85, v0, v1 offset1:4
	ds_store_2addr_b32 v85, v83, v2 offset0:8 offset1:12
	ds_store_2addr_b32 v85, v3, v84 offset0:16 offset1:20
	ds_store_b32 v85, v86 offset:96
.LBB0_25:
	s_wait_alu 0xfffe
	s_or_b32 exec_lo, exec_lo, s2
	global_wb scope:SCOPE_SE
	s_wait_dscnt 0x0
	s_barrier_signal -1
	s_barrier_wait -1
	global_inv scope:SCOPE_SE
	ds_load_2addr_stride64_b32 v[0:1], v107 offset0:42 offset1:49
	ds_load_2addr_stride64_b32 v[102:103], v107 offset0:140 offset1:147
	s_wait_dscnt 0x1
	v_lshrrev_b32_e32 v2, 16, v0
	v_mul_f16_e64 v3, v193, v0
	s_wait_dscnt 0x0
	v_lshrrev_b32_e32 v106, 16, v102
	v_mul_f16_e64 v110, v167, v102
	v_mul_f16_e64 v93, v193, v2
	v_fma_f16 v94, v32, v2, -v3
	ds_load_2addr_stride64_b32 v[2:3], v107 offset0:70 offset1:77
	v_fmac_f16_e32 v93, v32, v0
	v_lshrrev_b32_e32 v0, 16, v1
	s_wait_dscnt 0x0
	v_lshrrev_b32_e32 v83, 16, v3
	v_mul_f16_e64 v84, v192, v3
	s_delay_alu instid0(VALU_DEP_2) | instskip(NEXT) | instid1(VALU_DEP_2)
	v_mul_f16_e64 v96, v192, v83
	v_fma_f16 v95, v33, v83, -v84
	ds_load_2addr_stride64_b32 v[83:84], v107 offset0:112 offset1:119
	v_fmac_f16_e32 v96, v33, v3
	s_wait_dscnt 0x0
	v_lshrrev_b32_e32 v85, 16, v83
	v_mul_f16_e64 v86, v191, v83
	v_lshrrev_b32_e32 v3, 16, v84
	v_mul_f16_e64 v32, v186, v84
	s_delay_alu instid0(VALU_DEP_4) | instskip(NEXT) | instid1(VALU_DEP_4)
	v_mul_f16_e64 v98, v191, v85
	v_fma_f16 v97, v34, v85, -v86
	v_lshrrev_b32_e32 v85, 16, v103
	v_mul_f16_e64 v86, v190, v103
	s_delay_alu instid0(VALU_DEP_4) | instskip(SKIP_1) | instid1(VALU_DEP_4)
	v_fmac_f16_e32 v98, v34, v83
	v_mul_f16_e64 v83, v189, v0
	v_mul_f16_e64 v99, v190, v85
	s_delay_alu instid0(VALU_DEP_4)
	v_fma_f16 v100, v35, v85, -v86
	v_mul_f16_e64 v85, v186, v3
	v_fma_f16 v86, v18, v3, -v32
	v_fmac_f16_e32 v83, v16, v1
	v_mul_f16_e64 v1, v189, v1
	v_fmac_f16_e32 v99, v35, v103
	v_fmac_f16_e32 v85, v18, v84
	ds_load_2addr_stride64_b32 v[103:104], v107 offset0:126 offset1:133
	v_fma_f16 v84, v16, v0, -v1
	ds_load_2addr_stride64_b32 v[0:1], v107 offset0:84 offset1:91
	s_wait_dscnt 0x0
	v_lshrrev_b32_e32 v16, 16, v0
	v_mul_f16_e64 v33, v185, v0
	s_delay_alu instid0(VALU_DEP_2) | instskip(NEXT) | instid1(VALU_DEP_2)
	v_mul_f16_e64 v91, v185, v16
	v_fma_f16 v89, v17, v16, -v33
	ds_load_2addr_stride64_b32 v[32:33], v107 offset0:154 offset1:161
	v_fmac_f16_e32 v91, v17, v0
	s_wait_dscnt 0x0
	v_lshrrev_b32_e32 v3, 16, v32
	v_mul_f16_e64 v16, v183, v32
	v_lshrrev_b32_e32 v18, 16, v33
	v_mul_f16_e64 v34, v180, v33
	s_delay_alu instid0(VALU_DEP_4) | instskip(NEXT) | instid1(VALU_DEP_4)
	v_mul_f16_e64 v92, v183, v3
	v_fma_f16 v90, v19, v3, -v16
	v_lshrrev_b32_e32 v3, 16, v1
	v_mul_f16_e64 v16, v182, v1
	v_mul_f16_e64 v35, v180, v18
	v_fmac_f16_e32 v92, v19, v32
	v_fma_f16 v34, v15, v18, -v34
	v_mul_f16_e64 v17, v182, v3
	v_mul_f16_e64 v18, v175, v104
	v_fmac_f16_e32 v35, v15, v33
	s_delay_alu instid0(VALU_DEP_3) | instskip(SKIP_4) | instid1(VALU_DEP_2)
	v_fmac_f16_e32 v17, v13, v1
	ds_load_2addr_stride64_b32 v[0:1], v107 offset0:56 offset1:63
	s_wait_dscnt 0x0
	v_lshrrev_b32_e32 v19, 16, v0
	v_mul_f16_e64 v32, v179, v0
	v_mul_f16_e64 v87, v179, v19
	s_delay_alu instid0(VALU_DEP_2)
	v_fma_f16 v19, v12, v19, -v32
	v_fma_f16 v32, v13, v3, -v16
	v_lshrrev_b32_e32 v3, 16, v103
	v_mul_f16_e64 v13, v178, v103
	v_fmac_f16_e32 v87, v12, v0
	v_lshrrev_b32_e32 v0, 16, v1
	s_delay_alu instid0(VALU_DEP_4) | instskip(NEXT) | instid1(VALU_DEP_4)
	v_mul_f16_e64 v88, v178, v3
	v_fma_f16 v33, v14, v3, -v13
	v_lshrrev_b32_e32 v3, 16, v104
	s_delay_alu instid0(VALU_DEP_4) | instskip(NEXT) | instid1(VALU_DEP_4)
	v_mul_f16_e64 v12, v176, v0
	v_fmac_f16_e32 v88, v14, v103
	s_delay_alu instid0(VALU_DEP_3) | instskip(NEXT) | instid1(VALU_DEP_3)
	v_mul_f16_e64 v15, v175, v3
	v_fmac_f16_e32 v12, v8, v1
	v_mul_f16_e64 v1, v176, v1
	s_delay_alu instid0(VALU_DEP_3) | instskip(NEXT) | instid1(VALU_DEP_2)
	v_fmac_f16_e32 v15, v10, v104
	v_fma_f16 v13, v8, v0, -v1
	ds_load_2addr_stride64_b32 v[0:1], v107 offset0:98 offset1:105
	s_wait_dscnt 0x0
	v_lshrrev_b32_e32 v8, 16, v0
	v_mul_f16_e64 v14, v173, v0
	v_lshrrev_b32_e32 v104, 16, v1
	v_mul_f16_e64 v105, v168, v1
	s_delay_alu instid0(VALU_DEP_4) | instskip(NEXT) | instid1(VALU_DEP_4)
	v_mul_f16_e64 v16, v173, v8
	v_fma_f16 v14, v9, v8, -v14
	v_fma_f16 v8, v10, v3, -v18
	ds_load_b32 v3, v107 offset:43008
	v_fmac_f16_e32 v16, v9, v0
	s_wait_dscnt 0x0
	v_lshrrev_b32_e32 v10, 16, v3
	v_mul_f16_e64 v101, v172, v3
	s_delay_alu instid0(VALU_DEP_2) | instskip(NEXT) | instid1(VALU_DEP_2)
	v_mul_f16_e64 v18, v172, v10
	v_fma_f16 v10, v11, v10, -v101
	v_mul_f16_e64 v101, v167, v106
	s_delay_alu instid0(VALU_DEP_3) | instskip(SKIP_2) | instid1(VALU_DEP_4)
	v_fmac_f16_e32 v18, v11, v3
	v_mul_f16_e64 v11, v168, v104
	v_lshrrev_b32_e32 v3, 16, v2
	v_fmac_f16_e32 v101, v7, v102
	v_fma_f16 v7, v7, v106, -v110
	s_delay_alu instid0(VALU_DEP_4) | instskip(SKIP_3) | instid1(VALU_DEP_2)
	v_fmac_f16_e32 v11, v6, v1
	ds_load_2addr_stride64_b32 v[0:1], v107 offset0:28 offset1:35
	v_mul_f16_e64 v9, v171, v3
	v_fma_f16 v6, v6, v104, -v105
	v_fmac_f16_e32 v9, v5, v2
	v_mul_f16_e64 v2, v171, v2
	s_delay_alu instid0(VALU_DEP_2) | instskip(NEXT) | instid1(VALU_DEP_2)
	v_sub_f16_e32 v122, v9, v11
	v_fma_f16 v5, v5, v3, -v2
	v_sub_f16_e32 v2, v101, v11
	s_delay_alu instid0(VALU_DEP_2) | instskip(SKIP_3) | instid1(VALU_DEP_2)
	v_sub_f16_e32 v115, v5, v6
	s_wait_dscnt 0x0
	v_lshrrev_b32_e32 v102, 16, v1
	v_mul_f16_e64 v111, v165, v1
	v_mul_f16_e64 v103, v165, v102
	s_delay_alu instid0(VALU_DEP_2) | instskip(NEXT) | instid1(VALU_DEP_2)
	v_fma_f16 v102, v4, v102, -v111
	v_fmac_f16_e32 v103, v4, v1
	ds_load_2addr_stride64_b32 v[3:4], v107 offset1:7
	v_sub_f16_e32 v114, v102, v7
	v_sub_f16_e32 v1, v103, v9
	;; [unrolled: 1-line block ×3, first 2 shown]
	s_delay_alu instid0(VALU_DEP_2) | instskip(SKIP_2) | instid1(VALU_DEP_1)
	v_add_f16_e32 v104, v1, v2
	v_sub_f16_e32 v1, v102, v5
	v_sub_f16_e32 v2, v7, v6
	v_add_f16_e32 v105, v1, v2
	s_wait_dscnt 0x0
	v_lshrrev_b32_e32 v106, 16, v3
	v_add_f16_e32 v1, v3, v103
	s_delay_alu instid0(VALU_DEP_2) | instskip(NEXT) | instid1(VALU_DEP_2)
	v_add_f16_e32 v2, v106, v102
	v_add_f16_e32 v1, v1, v9
	s_delay_alu instid0(VALU_DEP_2) | instskip(NEXT) | instid1(VALU_DEP_2)
	v_add_f16_e32 v2, v2, v5
	v_add_f16_e32 v1, v1, v11
	s_delay_alu instid0(VALU_DEP_2) | instskip(NEXT) | instid1(VALU_DEP_2)
	v_add_f16_e32 v2, v2, v6
	v_add_f16_e32 v1, v1, v101
	s_delay_alu instid0(VALU_DEP_2) | instskip(NEXT) | instid1(VALU_DEP_1)
	v_add_f16_e32 v2, v2, v7
	v_pack_b32_f16 v110, v1, v2
	v_add_f16_e32 v1, v9, v11
	v_sub_f16_e32 v9, v9, v103
	v_sub_f16_e32 v11, v11, v101
	v_add_f16_e32 v2, v5, v6
	v_add_f16_e32 v101, v103, v101
	v_fma_f16 v111, -0.5, v1, v3
	v_sub_f16_e32 v5, v5, v102
	v_add_f16_e32 v9, v9, v11
	v_add_f16_e32 v11, v102, v7
	v_fma_f16 v118, -0.5, v2, v106
	v_sub_f16_e32 v6, v6, v7
	v_fma_f16 v3, -0.5, v101, v3
	v_fmamk_f16 v1, v114, 0xbb9c, v111
	v_fmac_f16_e32 v106, -0.5, v11
	v_fmamk_f16 v2, v120, 0x3b9c, v118
	v_add_f16_e32 v5, v5, v6
	v_fmamk_f16 v7, v115, 0x3b9c, v3
	v_fmac_f16_e32 v3, 0xbb9c, v115
	v_fmamk_f16 v6, v122, 0xbb9c, v106
	v_fmac_f16_e32 v106, 0x3b9c, v122
	v_fmac_f16_e32 v111, 0x3b9c, v114
	;; [unrolled: 1-line block ×17, first 2 shown]
	v_pack_b32_f16 v5, v7, v6
	v_pack_b32_f16 v3, v3, v106
	v_fmac_f16_e32 v111, 0x34f2, v104
	v_fmac_f16_e32 v118, 0x34f2, v105
	v_pack_b32_f16 v123, v1, v2
	ds_load_2addr_stride64_b32 v[1:2], v107 offset0:14 offset1:21
	global_wb scope:SCOPE_SE
	s_wait_dscnt 0x0
	s_barrier_signal -1
	s_barrier_wait -1
	global_inv scope:SCOPE_SE
	ds_store_2addr_b32 v164, v5, v3 offset0:56 offset1:84
	v_pack_b32_f16 v3, v111, v118
	v_add_f16_e32 v5, v4, v93
	v_lshrrev_b32_e32 v6, 16, v4
	v_sub_f16_e32 v9, v98, v99
	v_sub_f16_e32 v11, v97, v100
	ds_store_b32 v164, v3 offset:448
	v_add_f16_e32 v3, v96, v98
	v_add_f16_e32 v7, v6, v94
	v_sub_f16_e32 v104, v96, v98
	ds_store_2addr_b32 v164, v110, v123 offset1:28
	v_sub_f16_e32 v106, v94, v100
	v_fma_f16 v101, -0.5, v3, v4
	v_add_f16_e32 v3, v93, v99
	v_sub_f16_e32 v110, v93, v99
	v_add_f16_e32 v5, v5, v96
	v_add_f16_e32 v7, v7, v95
	s_delay_alu instid0(VALU_DEP_4) | instskip(SKIP_1) | instid1(VALU_DEP_4)
	v_fmac_f16_e32 v4, -0.5, v3
	v_add_f16_e32 v3, v95, v97
	v_add_f16_e32 v5, v5, v98
	s_delay_alu instid0(VALU_DEP_4) | instskip(NEXT) | instid1(VALU_DEP_3)
	v_add_f16_e32 v7, v7, v97
	v_fma_f16 v102, -0.5, v3, v6
	v_add_f16_e32 v3, v94, v100
	s_delay_alu instid0(VALU_DEP_4) | instskip(NEXT) | instid1(VALU_DEP_4)
	v_add_f16_e32 v5, v5, v99
	v_add_f16_e32 v7, v7, v100
	s_delay_alu instid0(VALU_DEP_3) | instskip(SKIP_1) | instid1(VALU_DEP_3)
	v_fmac_f16_e32 v6, -0.5, v3
	v_sub_f16_e32 v3, v96, v93
	v_pack_b32_f16 v5, v5, v7
	v_fmamk_f16 v7, v110, 0x3b9c, v102
	v_fmac_f16_e32 v102, 0xbb9c, v110
	v_fmamk_f16 v105, v104, 0xbb9c, v6
	v_add_f16_e32 v3, v3, v9
	v_sub_f16_e32 v9, v95, v94
	v_fmac_f16_e32 v6, 0x3b9c, v104
	v_fmac_f16_e32 v7, 0x38b4, v104
	;; [unrolled: 1-line block ×4, first 2 shown]
	v_add_f16_e32 v9, v9, v11
	v_sub_f16_e32 v11, v95, v97
	v_fmac_f16_e32 v6, 0xb8b4, v110
	s_delay_alu instid0(VALU_DEP_3) | instskip(NEXT) | instid1(VALU_DEP_3)
	v_fmac_f16_e32 v105, 0x34f2, v9
	v_fmamk_f16 v103, v11, 0x3b9c, v4
	v_fmac_f16_e32 v4, 0xbb9c, v11
	s_delay_alu instid0(VALU_DEP_4) | instskip(SKIP_1) | instid1(VALU_DEP_4)
	v_fmac_f16_e32 v6, 0x34f2, v9
	v_add_f16_e32 v9, v2, v87
	v_fmac_f16_e32 v103, 0xb8b4, v106
	s_delay_alu instid0(VALU_DEP_4) | instskip(NEXT) | instid1(VALU_DEP_2)
	v_fmac_f16_e32 v4, 0x38b4, v106
	v_fmac_f16_e32 v103, 0x34f2, v3
	s_delay_alu instid0(VALU_DEP_2) | instskip(SKIP_2) | instid1(VALU_DEP_3)
	v_fmac_f16_e32 v4, 0x34f2, v3
	v_fmamk_f16 v3, v106, 0xbb9c, v101
	v_fmac_f16_e32 v101, 0x3b9c, v106
	v_pack_b32_f16 v4, v4, v6
	v_sub_f16_e32 v6, v93, v96
	v_sub_f16_e32 v93, v94, v95
	v_sub_f16_e32 v94, v99, v98
	v_sub_f16_e32 v95, v100, v97
	v_fmac_f16_e32 v3, 0xb8b4, v11
	v_fmac_f16_e32 v101, 0x38b4, v11
	v_sub_f16_e32 v11, v32, v33
	v_add_f16_e32 v6, v6, v94
	v_add_f16_e32 v93, v93, v95
	s_delay_alu instid0(VALU_DEP_2) | instskip(NEXT) | instid1(VALU_DEP_2)
	v_fmac_f16_e32 v3, 0x34f2, v6
	v_fmac_f16_e32 v7, 0x34f2, v93
	;; [unrolled: 1-line block ×3, first 2 shown]
	v_sub_f16_e32 v6, v92, v85
	v_fmac_f16_e32 v102, 0x34f2, v93
	v_lshrrev_b32_e32 v93, 16, v1
	v_pack_b32_f16 v3, v3, v7
	v_pack_b32_f16 v7, v103, v105
	ds_store_2addr_b32 v160, v5, v3 offset1:28
	ds_store_2addr_b32 v160, v7, v4 offset0:56 offset1:84
	v_sub_f16_e32 v4, v83, v91
	v_add_f16_e32 v5, v83, v92
	v_add_f16_e32 v3, v91, v85
	v_sub_f16_e32 v7, v89, v86
	s_delay_alu instid0(VALU_DEP_4) | instskip(NEXT) | instid1(VALU_DEP_4)
	v_add_f16_e32 v4, v4, v6
	v_fma_f16 v96, -0.5, v5, v1
	v_sub_f16_e32 v5, v91, v83
	v_sub_f16_e32 v6, v85, v92
	v_fma_f16 v94, -0.5, v3, v1
	v_sub_f16_e32 v3, v84, v90
	v_fmamk_f16 v97, v7, 0x3b9c, v96
	v_fmac_f16_e32 v96, 0xbb9c, v7
	v_add_f16_e32 v5, v5, v6
	v_add_f16_e32 v6, v1, v83
	v_fmamk_f16 v95, v3, 0xbb9c, v94
	v_fmac_f16_e32 v94, 0x3b9c, v3
	v_fmac_f16_e32 v97, 0xb8b4, v3
	;; [unrolled: 1-line block ×3, first 2 shown]
	v_add_f16_e32 v6, v6, v91
	v_fmac_f16_e32 v95, 0xb8b4, v7
	v_fmac_f16_e32 v94, 0x38b4, v7
	v_add_f16_e32 v1, v93, v84
	v_fmac_f16_e32 v97, 0x34f2, v5
	v_add_f16_e32 v3, v6, v85
	v_fmac_f16_e32 v95, 0x34f2, v4
	v_fmac_f16_e32 v94, 0x34f2, v4
	v_sub_f16_e32 v4, v83, v92
	v_add_f16_e32 v1, v1, v89
	v_add_f16_e32 v98, v3, v92
	;; [unrolled: 1-line block ×3, first 2 shown]
	v_fmac_f16_e32 v96, 0x34f2, v5
	v_sub_f16_e32 v5, v84, v89
	v_sub_f16_e32 v6, v90, v86
	v_add_f16_e32 v7, v84, v90
	v_fma_f16 v92, -0.5, v3, v93
	v_sub_f16_e32 v3, v91, v85
	v_add_f16_e32 v1, v1, v86
	v_add_f16_e32 v5, v5, v6
	v_fmac_f16_e32 v93, -0.5, v7
	v_fmamk_f16 v85, v4, 0x3b9c, v92
	v_fmac_f16_e32 v92, 0xbb9c, v4
	v_sub_f16_e32 v6, v89, v84
	v_add_f16_e32 v84, v1, v90
	v_sub_f16_e32 v1, v86, v90
	v_fmac_f16_e32 v85, 0x38b4, v3
	v_fmac_f16_e32 v92, 0xb8b4, v3
	v_fmamk_f16 v86, v3, 0xbb9c, v93
	v_fmac_f16_e32 v93, 0x3b9c, v3
	v_sub_f16_e32 v7, v19, v34
	v_fmac_f16_e32 v85, 0x34f2, v5
	v_fmac_f16_e32 v92, 0x34f2, v5
	v_add_f16_e32 v5, v6, v1
	v_add_f16_e32 v1, v17, v88
	v_fmac_f16_e32 v86, 0x38b4, v4
	v_fmac_f16_e32 v93, 0xb8b4, v4
	v_sub_f16_e32 v3, v87, v17
	v_sub_f16_e32 v6, v35, v88
	v_fma_f16 v4, -0.5, v1, v2
	v_add_f16_e32 v1, v87, v35
	v_lshrrev_b32_e32 v83, 16, v2
	v_sub_f16_e32 v89, v88, v35
	v_add_f16_e32 v6, v3, v6
	v_fmac_f16_e32 v86, 0x34f2, v5
	v_fmac_f16_e32 v2, -0.5, v1
	v_fmamk_f16 v1, v7, 0xbb9c, v4
	v_fmac_f16_e32 v4, 0x3b9c, v7
	v_fmac_f16_e32 v93, 0x34f2, v5
	v_add_f16_e32 v5, v9, v17
	v_fmamk_f16 v3, v11, 0x3b9c, v2
	v_fmac_f16_e32 v1, 0xb8b4, v11
	v_fmac_f16_e32 v4, 0x38b4, v11
	;; [unrolled: 1-line block ×3, first 2 shown]
	v_sub_f16_e32 v11, v17, v87
	v_fmac_f16_e32 v3, 0xb8b4, v7
	v_add_f16_e32 v5, v5, v88
	v_sub_f16_e32 v9, v17, v88
	v_fmac_f16_e32 v2, 0x38b4, v7
	v_add_f16_e32 v11, v11, v89
	v_sub_f16_e32 v7, v34, v33
	v_add_f16_e32 v89, v5, v35
	v_sub_f16_e32 v5, v19, v32
	v_add_f16_e32 v17, v32, v33
	v_fmac_f16_e32 v3, 0x34f2, v11
	v_fmac_f16_e32 v2, 0x34f2, v11
	v_add_f16_e32 v11, v83, v19
	v_fmac_f16_e32 v1, 0x34f2, v6
	v_fmac_f16_e32 v4, 0x34f2, v6
	v_sub_f16_e32 v6, v87, v35
	v_add_f16_e32 v7, v5, v7
	v_add_f16_e32 v5, v19, v34
	;; [unrolled: 1-line block ×3, first 2 shown]
	v_fma_f16 v17, -0.5, v17, v83
	v_sub_f16_e32 v19, v32, v19
	v_sub_f16_e32 v32, v33, v34
	v_fmac_f16_e32 v83, -0.5, v5
	v_add_f16_e32 v11, v11, v33
	v_fmamk_f16 v5, v6, 0x3b9c, v17
	v_fmac_f16_e32 v17, 0xbb9c, v6
	v_add_f16_e32 v33, v12, v18
	v_add_f16_e32 v87, v0, v12
	;; [unrolled: 1-line block ×3, first 2 shown]
	v_fmac_f16_e32 v5, 0x38b4, v9
	v_fmac_f16_e32 v17, 0xb8b4, v9
	v_fmamk_f16 v11, v9, 0xbb9c, v83
	v_fmac_f16_e32 v83, 0x3b9c, v9
	v_sub_f16_e32 v9, v12, v16
	v_fmac_f16_e32 v5, 0x34f2, v7
	v_fmac_f16_e32 v17, 0x34f2, v7
	v_add_f16_e32 v7, v19, v32
	v_sub_f16_e32 v19, v18, v15
	v_add_f16_e32 v32, v16, v15
	v_fmac_f16_e32 v11, 0x38b4, v6
	v_fmac_f16_e32 v83, 0xb8b4, v6
	v_sub_f16_e32 v88, v14, v8
	v_add_f16_e32 v34, v9, v19
	v_fma_f16 v6, -0.5, v32, v0
	v_lshrrev_b32_e32 v19, 16, v0
	v_fmac_f16_e32 v0, -0.5, v33
	v_sub_f16_e32 v33, v13, v10
	v_fmac_f16_e32 v11, 0x34f2, v7
	v_fmac_f16_e32 v83, 0x34f2, v7
	v_add_f16_e32 v7, v87, v16
	v_fmamk_f16 v32, v88, 0x3b9c, v0
	v_fmamk_f16 v9, v33, 0xbb9c, v6
	v_fmac_f16_e32 v6, 0x3b9c, v33
	v_fmac_f16_e32 v0, 0xbb9c, v88
	v_add_f16_e32 v7, v7, v15
	v_sub_f16_e32 v90, v15, v18
	v_fmac_f16_e32 v9, 0xb8b4, v88
	v_fmac_f16_e32 v6, 0x38b4, v88
	v_sub_f16_e32 v88, v16, v12
	v_fmac_f16_e32 v32, 0xb8b4, v33
	v_fmac_f16_e32 v0, 0x38b4, v33
	v_add_f16_e32 v7, v7, v18
	v_sub_f16_e32 v18, v12, v18
	v_sub_f16_e32 v15, v16, v15
	;; [unrolled: 1-line block ×4, first 2 shown]
	v_add_f16_e32 v33, v14, v8
	v_fmac_f16_e32 v9, 0x34f2, v34
	v_fmac_f16_e32 v6, 0x34f2, v34
	v_add_f16_e32 v34, v19, v13
	v_add_f16_e32 v16, v12, v16
	v_fma_f16 v12, -0.5, v33, v19
	v_add_f16_e32 v33, v13, v10
	v_add_f16_e32 v88, v88, v90
	v_pack_b32_f16 v35, v89, v35
	s_delay_alu instid0(VALU_DEP_3)
	v_fmac_f16_e32 v19, -0.5, v33
	v_add_f16_e32 v33, v34, v14
	v_sub_f16_e32 v34, v14, v13
	v_fmamk_f16 v13, v18, 0x3b9c, v12
	v_fmac_f16_e32 v12, 0xbb9c, v18
	v_fmamk_f16 v14, v15, 0xbb9c, v19
	v_fmac_f16_e32 v19, 0x3b9c, v15
	v_fmac_f16_e32 v32, 0x34f2, v88
	;; [unrolled: 1-line block ×4, first 2 shown]
	v_add_f16_e32 v15, v33, v8
	v_sub_f16_e32 v8, v8, v10
	v_fmac_f16_e32 v14, 0x38b4, v18
	v_fmac_f16_e32 v19, 0xb8b4, v18
	;; [unrolled: 1-line block ×4, first 2 shown]
	v_add_f16_e32 v33, v34, v8
	v_add_f16_e32 v8, v15, v10
	v_pack_b32_f16 v10, v101, v102
	v_pack_b32_f16 v15, v98, v84
	;; [unrolled: 1-line block ×3, first 2 shown]
	v_fmac_f16_e32 v14, 0x34f2, v33
	v_fmac_f16_e32 v19, 0x34f2, v33
	v_pack_b32_f16 v18, v97, v86
	v_pack_b32_f16 v33, v96, v93
	v_fmac_f16_e32 v0, 0x34f2, v88
	v_pack_b32_f16 v34, v94, v92
	v_pack_b32_f16 v84, v1, v5
	ds_store_b32 v160, v10 offset:448
	ds_store_2addr_b32 v163, v15, v16 offset1:28
	ds_store_2addr_b32 v163, v18, v33 offset0:56 offset1:84
	ds_store_b32 v163, v34 offset:448
	ds_store_2addr_b32 v161, v35, v84 offset1:28
	v_pack_b32_f16 v10, v3, v11
	v_pack_b32_f16 v15, v2, v83
	;; [unrolled: 1-line block ×8, first 2 shown]
	ds_store_2addr_b32 v161, v10, v15 offset0:56 offset1:84
	ds_store_b32 v161, v16 offset:448
	ds_store_2addr_b32 v162, v18, v33 offset1:28
	ds_store_2addr_b32 v162, v34, v35 offset0:56 offset1:84
	ds_store_b32 v162, v84 offset:448
	global_wb scope:SCOPE_SE
	s_wait_dscnt 0x0
	s_barrier_signal -1
	s_barrier_wait -1
	global_inv scope:SCOPE_SE
	ds_load_b32 v92, v107 offset:2800
	ds_load_b32 v91, v107 offset:5600
	;; [unrolled: 1-line block ×14, first 2 shown]
	ds_load_b32 v10, v107
	ds_load_b32 v15, v107 offset:42000
	s_and_saveexec_b32 s1, s0
	s_cbranch_execz .LBB0_27
; %bb.26:
	ds_load_b32 v1, v107 offset:1792
	ds_load_b32 v3, v107 offset:4592
	;; [unrolled: 1-line block ×16, first 2 shown]
	s_wait_dscnt 0xf
	v_lshrrev_b32_e32 v5, 16, v1
	s_wait_dscnt 0xe
	v_lshrrev_b32_e32 v11, 16, v3
	;; [unrolled: 2-line block ×16, first 2 shown]
.LBB0_27:
	s_wait_alu 0xfffe
	s_or_b32 exec_lo, exec_lo, s1
	s_wait_dscnt 0xf
	v_lshrrev_b32_e32 v94, 16, v92
	s_wait_dscnt 0xe
	v_lshrrev_b32_e32 v95, 16, v91
	;; [unrolled: 2-line block ×4, first 2 shown]
	v_mul_f16_e64 v115, v226, v92
	v_mul_f16_e64 v110, v226, v94
	;; [unrolled: 1-line block ×4, first 2 shown]
	s_wait_dscnt 0xb
	v_lshrrev_b32_e32 v98, 16, v88
	s_wait_dscnt 0xa
	v_lshrrev_b32_e32 v99, 16, v87
	v_fmac_f16_e32 v110, v48, v92
	v_mul_f16_e64 v92, v227, v91
	s_wait_dscnt 0x9
	v_lshrrev_b32_e32 v100, 16, v86
	v_fmac_f16_e32 v118, v49, v91
	v_mul_f16_e64 v91, v225, v90
	v_fmac_f16_e32 v120, v50, v90
	v_fma_f16 v49, v49, v95, -v92
	v_mul_f16_e64 v90, v223, v97
	v_mul_f16_e64 v92, v223, v89
	s_wait_dscnt 0x8
	v_lshrrev_b32_e32 v101, 16, v85
	v_fma_f16 v48, v48, v94, -v115
	v_fma_f16 v50, v50, v96, -v91
	v_mul_f16_e64 v91, v224, v98
	v_mul_f16_e64 v94, v224, v88
	v_fmac_f16_e32 v90, v51, v89
	v_fma_f16 v51, v51, v97, -v92
	v_mul_f16_e64 v89, v221, v99
	v_mul_f16_e64 v92, v222, v100
	s_wait_dscnt 0x7
	v_lshrrev_b32_e32 v102, 16, v84
	s_wait_dscnt 0x6
	v_lshrrev_b32_e32 v103, 16, v35
	v_fmac_f16_e32 v91, v44, v88
	v_fma_f16 v44, v44, v98, -v94
	v_mul_f16_e64 v88, v221, v87
	v_fmac_f16_e32 v89, v45, v87
	v_mul_f16_e64 v87, v222, v86
	v_mul_f16_e64 v94, v220, v101
	v_fmac_f16_e32 v92, v46, v86
	v_mul_f16_e64 v86, v220, v85
	s_wait_dscnt 0x5
	v_lshrrev_b32_e32 v104, 16, v34
	s_wait_dscnt 0x4
	v_lshrrev_b32_e32 v105, 16, v33
	;; [unrolled: 2-line block ×3, first 2 shown]
	v_fma_f16 v45, v45, v99, -v88
	v_fma_f16 v46, v46, v100, -v87
	v_fmac_f16_e32 v94, v47, v85
	v_mul_f16_e64 v85, v234, v102
	v_mul_f16_e64 v87, v234, v84
	v_fma_f16 v47, v47, v101, -v86
	v_mul_f16_e64 v86, v235, v103
	v_mul_f16_e64 v88, v235, v35
	s_wait_dscnt 0x2
	v_lshrrev_b32_e32 v111, 16, v16
	v_fmac_f16_e32 v85, v52, v84
	v_fma_f16 v52, v52, v102, -v87
	v_mul_f16_e64 v84, v232, v104
	v_fmac_f16_e32 v86, v53, v35
	v_fma_f16 v35, v53, v103, -v88
	v_mul_f16_e64 v53, v232, v34
	v_mul_f16_e64 v87, v233, v105
	;; [unrolled: 1-line block ×3, first 2 shown]
	v_fmac_f16_e32 v84, v54, v34
	v_mul_f16_e64 v34, v233, v33
	v_fma_f16 v53, v54, v104, -v53
	v_fmac_f16_e32 v87, v55, v33
	v_mul_f16_e64 v33, v231, v18
	v_fmac_f16_e32 v88, v75, v18
	v_mul_f16_e64 v18, v229, v111
	v_mul_f16_e64 v54, v229, v16
	s_wait_dscnt 0x1
	v_lshrrev_b32_e32 v93, 16, v10
	s_wait_dscnt 0x0
	v_lshrrev_b32_e32 v114, 16, v15
	v_fma_f16 v34, v55, v105, -v34
	v_fmac_f16_e32 v18, v76, v16
	v_fma_f16 v16, v76, v111, -v54
	v_fma_f16 v33, v75, v106, -v33
	v_mul_f16_e64 v55, v230, v114
	v_mul_f16_e64 v75, v230, v15
	v_sub_f16_e32 v47, v93, v47
	v_sub_f16_e32 v34, v51, v34
	;; [unrolled: 1-line block ×5, first 2 shown]
	v_fmac_f16_e32 v55, v77, v15
	v_fma_f16 v15, v77, v114, -v75
	v_sub_f16_e32 v76, v118, v86
	v_fma_f16 v77, v93, 2.0, -v47
	v_fma_f16 v51, v51, 2.0, -v34
	;; [unrolled: 1-line block ×4, first 2 shown]
	v_sub_f16_e32 v75, v90, v87
	v_sub_f16_e32 v18, v89, v18
	;; [unrolled: 1-line block ×3, first 2 shown]
	v_add_f16_e32 v34, v54, v34
	v_sub_f16_e32 v45, v49, v45
	v_add_f16_e32 v16, v76, v16
	v_fma_f16 v10, v10, 2.0, -v54
	v_fma_f16 v86, v90, 2.0, -v75
	;; [unrolled: 1-line block ×3, first 2 shown]
	v_sub_f16_e32 v85, v110, v85
	v_fma_f16 v89, v89, 2.0, -v18
	v_sub_f16_e32 v88, v91, v88
	v_sub_f16_e32 v33, v44, v33
	;; [unrolled: 1-line block ×7, first 2 shown]
	v_fma_f16 v77, v77, 2.0, -v51
	v_fma_f16 v54, v54, 2.0, -v34
	v_sub_f16_e32 v18, v35, v18
	v_fma_f16 v49, v49, 2.0, -v45
	v_fma_f16 v76, v76, 2.0, -v16
	v_sub_f16_e32 v52, v48, v52
	v_fma_f16 v90, v110, 2.0, -v85
	v_fma_f16 v91, v91, 2.0, -v88
	;; [unrolled: 1-line block ×6, first 2 shown]
	v_sub_f16_e32 v89, v87, v89
	v_fma_f16 v47, v47, 2.0, -v75
	v_fma_f16 v35, v35, 2.0, -v18
	v_add_f16_e32 v33, v85, v33
	v_add_f16_e32 v15, v84, v15
	v_sub_f16_e32 v55, v53, v55
	v_fmamk_f16 v94, v76, 0xb9a8, v54
	v_sub_f16_e32 v49, v77, v49
	v_fma_f16 v50, v50, 2.0, -v53
	v_sub_f16_e32 v86, v10, v86
	v_fma_f16 v87, v87, 2.0, -v89
	v_sub_f16_e32 v91, v90, v91
	v_sub_f16_e32 v88, v52, v88
	;; [unrolled: 1-line block ×3, first 2 shown]
	v_fma_f16 v85, v85, 2.0, -v33
	v_fma_f16 v84, v84, 2.0, -v15
	v_fmamk_f16 v95, v35, 0xb9a8, v47
	v_fmac_f16_e32 v94, 0x39a8, v35
	v_fma_f16 v35, v53, 2.0, -v55
	v_fma_f16 v53, v77, 2.0, -v49
	v_sub_f16_e32 v77, v51, v89
	v_fmamk_f16 v89, v18, 0x39a8, v75
	v_fma_f16 v48, v48, 2.0, -v52
	v_fma_f16 v90, v90, 2.0, -v91
	;; [unrolled: 1-line block ×4, first 2 shown]
	v_fmac_f16_e32 v95, 0xb9a8, v76
	v_fmamk_f16 v76, v16, 0x39a8, v34
	v_add_f16_e32 v45, v86, v45
	v_fmac_f16_e32 v89, 0xb9a8, v16
	v_fmamk_f16 v16, v84, 0xb9a8, v85
	v_fma_f16 v10, v10, 2.0, -v86
	v_fmac_f16_e32 v76, 0x39a8, v18
	v_fma_f16 v18, v86, 2.0, -v45
	v_sub_f16_e32 v86, v90, v93
	v_fmamk_f16 v93, v35, 0xb9a8, v52
	v_fmac_f16_e32 v16, 0x39a8, v35
	v_sub_f16_e32 v44, v48, v44
	v_sub_f16_e32 v46, v50, v46
	;; [unrolled: 1-line block ×3, first 2 shown]
	v_fmac_f16_e32 v93, 0xb9a8, v84
	v_fma_f16 v84, v85, 2.0, -v16
	v_fmamk_f16 v85, v15, 0x39a8, v33
	v_fma_f16 v50, v50, 2.0, -v46
	v_fma_f16 v10, v10, 2.0, -v87
	;; [unrolled: 1-line block ×6, first 2 shown]
	v_add_f16_e32 v46, v91, v46
	v_sub_f16_e32 v90, v44, v92
	v_fmamk_f16 v92, v55, 0x39a8, v88
	v_fma_f16 v52, v52, 2.0, -v93
	v_fmac_f16_e32 v85, 0x39a8, v55
	v_fma_f16 v34, v34, 2.0, -v76
	v_fma_f16 v55, v91, 2.0, -v46
	v_fmac_f16_e32 v92, 0xb9a8, v15
	v_sub_f16_e32 v15, v10, v75
	v_fma_f16 v33, v33, 2.0, -v85
	v_fmamk_f16 v75, v84, 0xbb64, v54
	v_fmamk_f16 v91, v52, 0xbb64, v47
	v_fma_f16 v48, v48, 2.0, -v44
	v_fma_f16 v51, v51, 2.0, -v77
	v_fma_f16 v44, v44, 2.0, -v90
	v_fma_f16 v88, v88, 2.0, -v92
	v_fmac_f16_e32 v75, 0x361f, v52
	v_fmamk_f16 v52, v55, 0xb9a8, v18
	v_fmac_f16_e32 v91, 0xb61f, v84
	v_fmamk_f16 v84, v33, 0xb61f, v34
	v_sub_f16_e32 v50, v48, v50
	v_fmamk_f16 v96, v44, 0xb9a8, v51
	v_fmac_f16_e32 v52, 0x39a8, v44
	v_fmamk_f16 v44, v88, 0xb61f, v35
	v_fmac_f16_e32 v84, 0x3b64, v88
	v_fma_f16 v48, v48, 2.0, -v50
	v_fmac_f16_e32 v96, 0xb9a8, v55
	v_fmamk_f16 v55, v16, 0x361f, v94
	v_fmac_f16_e32 v44, 0xbb64, v33
	v_fma_f16 v33, v34, 2.0, -v84
	v_add_f16_e32 v34, v87, v50
	v_sub_f16_e32 v50, v49, v86
	v_fmamk_f16 v86, v93, 0x361f, v95
	v_sub_f16_e32 v48, v53, v48
	v_fmac_f16_e32 v55, 0x3b64, v93
	v_fmamk_f16 v88, v90, 0x39a8, v77
	v_fmamk_f16 v93, v85, 0x3b64, v76
	v_fmac_f16_e32 v86, 0xbb64, v16
	v_fmamk_f16 v16, v46, 0x39a8, v45
	v_fmamk_f16 v97, v92, 0x3b64, v89
	v_fma_f16 v10, v10, 2.0, -v15
	v_fma_f16 v53, v53, 2.0, -v48
	;; [unrolled: 1-line block ×4, first 2 shown]
	v_fmac_f16_e32 v16, 0x39a8, v90
	v_fmac_f16_e32 v88, 0xb9a8, v46
	;; [unrolled: 1-line block ×4, first 2 shown]
	v_fma_f16 v18, v18, 2.0, -v52
	v_fma_f16 v51, v51, 2.0, -v96
	;; [unrolled: 1-line block ×11, first 2 shown]
	v_pack_b32_f16 v10, v10, v53
	v_pack_b32_f16 v47, v54, v47
	;; [unrolled: 1-line block ×4, first 2 shown]
	v_add_nc_u32_e32 v35, 0x400, v196
	v_pack_b32_f16 v49, v87, v49
	v_pack_b32_f16 v46, v94, v46
	v_add_nc_u32_e32 v51, 0x800, v196
	global_wb scope:SCOPE_SE
	s_barrier_signal -1
	s_barrier_wait -1
	global_inv scope:SCOPE_SE
	ds_store_2addr_b32 v196, v10, v47 offset1:140
	ds_store_2addr_b32 v35, v18, v33 offset0:24 offset1:164
	ds_store_2addr_b32 v51, v49, v46 offset0:48 offset1:188
	v_pack_b32_f16 v10, v45, v77
	v_pack_b32_f16 v18, v76, v85
	v_add_nc_u32_e32 v33, 0xc00, v196
	v_pack_b32_f16 v15, v15, v48
	v_pack_b32_f16 v35, v75, v91
	v_add_nc_u32_e32 v45, 0x1000, v196
	;; [unrolled: 3-line block ×5, first 2 shown]
	ds_store_2addr_b32 v33, v10, v18 offset0:72 offset1:212
	ds_store_2addr_b32 v45, v15, v35 offset0:96 offset1:236
	;; [unrolled: 1-line block ×5, first 2 shown]
	s_and_saveexec_b32 s1, s0
	s_cbranch_execz .LBB0_29
; %bb.28:
	v_mul_f16_e64 v16, v218, v14
	v_lshrrev_b32_e32 v76, 16, v31
	v_mul_f16_e64 v10, v214, v2
	v_mul_f16_e64 v18, v228, v243
	;; [unrolled: 1-line block ×4, first 2 shown]
	v_fmac_f16_e32 v16, v21, v32
	v_mul_f16_e64 v32, v214, v83
	v_mul_f16_e64 v35, v76, v236
	v_lshrrev_b32_e32 v53, 16, v22
	v_fma_f16 v10, v25, v83, -v10
	v_fmac_f16_e64 v18, v73, v242
	v_fma_f16 v14, v21, v14, -v33
	v_fma_f16 v21, v73, v243, -v34
	v_lshrrev_b32_e32 v55, 16, v27
	v_lshrrev_b32_e32 v73, 16, v23
	v_fmac_f16_e32 v32, v25, v2
	v_fma_f16 v25, v31, v238, -v35
	v_mul_f16_e64 v35, v206, v4
	v_mul_f16_e32 v48, v53, v19
	v_lshrrev_b32_e32 v75, 16, v24
	v_mul_f16_e64 v33, v219, v82
	v_mul_f16_e32 v34, v55, v7
	v_mul_f16_e32 v44, v73, v12
	v_fma_f16 v35, v26, v17, -v35
	v_mul_f16_e32 v50, v75, v3
	v_fmac_f16_e32 v48, v22, v0
	v_mul_f16_e64 v52, v204, v13
	v_mul_f16_e32 v0, v53, v0
	v_mul_f16_e64 v53, v215, v240
	v_mul_f16_e64 v17, v206, v17
	;; [unrolled: 1-line block ×3, first 2 shown]
	v_fmac_f16_e32 v33, v29, v81
	v_fma_f16 v2, v27, v8, -v34
	v_fmac_f16_e32 v44, v23, v6
	v_fma_f16 v50, v24, v11, -v50
	;; [unrolled: 2-line block ×3, first 2 shown]
	v_fma_f16 v19, v74, v241, -v53
	v_fmac_f16_e32 v17, v26, v4
	v_mul_f16_e64 v4, v212, v71
	v_mul_f16_e64 v9, v204, v9
	;; [unrolled: 1-line block ×3, first 2 shown]
	v_mul_f16_e32 v11, v75, v11
	v_mul_f16_e64 v26, v208, v70
	v_mul_f16_e32 v8, v55, v8
	v_mul_f16_e64 v53, v76, v238
	v_mul_f16_e32 v6, v73, v6
	v_fma_f16 v15, v29, v82, -v15
	v_sub_f16_e32 v29, v32, v33
	v_sub_f16_e32 v33, v1, v44
	v_mul_f16_e64 v44, v212, v69
	v_mul_f16_e64 v49, v215, v241
	;; [unrolled: 1-line block ×4, first 2 shown]
	v_fmac_f16_e32 v4, v30, v69
	v_fma_f16 v9, v20, v13, -v9
	v_fma_f16 v13, v72, v239, -v22
	v_fmac_f16_e32 v11, v24, v3
	v_fmac_f16_e32 v26, v28, v68
	;; [unrolled: 1-line block ×3, first 2 shown]
	v_fmac_f16_e64 v53, v31, v236
	v_fma_f16 v6, v23, v12, -v6
	v_sub_f16_e32 v21, v14, v21
	v_sub_f16_e32 v15, v10, v15
	;; [unrolled: 1-line block ×4, first 2 shown]
	v_fma_f16 v44, v30, v71, -v44
	v_fmac_f16_e64 v49, v74, v240
	v_fma_f16 v51, v28, v70, -v51
	v_fmac_f16_e64 v54, v72, v237
	v_sub_f16_e32 v3, v0, v19
	v_sub_f16_e32 v4, v17, v4
	;; [unrolled: 1-line block ×6, first 2 shown]
	v_add_f16_e32 v34, v21, v29
	v_add_f16_e32 v45, v25, v33
	v_sub_f16_e32 v46, v15, v18
	v_sub_f16_e32 v44, v35, v44
	;; [unrolled: 1-line block ×5, first 2 shown]
	v_add_f16_e32 v26, v3, v4
	v_add_f16_e32 v28, v13, v19
	v_fma_f16 v8, v8, 2.0, -v12
	v_sub_f16_e32 v12, v6, v12
	v_fmamk_f16 v47, v34, 0x39a8, v45
	v_sub_f16_e32 v30, v44, v20
	v_sub_f16_e32 v49, v22, v24
	v_fmamk_f16 v51, v26, 0x39a8, v28
	v_fma_f16 v10, v10, 2.0, -v15
	v_fma_f16 v14, v14, 2.0, -v21
	v_fma_f16 v1, v1, 2.0, -v33
	v_fma_f16 v21, v50, 2.0, -v22
	v_fma_f16 v23, v35, 2.0, -v44
	v_fma_f16 v0, v0, 2.0, -v3
	v_fma_f16 v3, v11, 2.0, -v19
	v_fma_f16 v11, v52, 2.0, -v24
	v_fma_f16 v9, v9, 2.0, -v13
	v_fma_f16 v13, v17, 2.0, -v4
	v_fma_f16 v17, v48, 2.0, -v20
	v_fmamk_f16 v20, v46, 0x39a8, v12
	v_fma_f16 v5, v5, 2.0, -v6
	v_fma_f16 v2, v2, 2.0, -v25
	;; [unrolled: 1-line block ×8, first 2 shown]
	v_fmac_f16_e32 v47, 0x39a8, v46
	v_fmamk_f16 v54, v30, 0x39a8, v49
	v_fmac_f16_e32 v51, 0x39a8, v30
	v_sub_f16_e32 v14, v10, v14
	v_sub_f16_e32 v8, v1, v8
	;; [unrolled: 1-line block ×6, first 2 shown]
	v_fmac_f16_e32 v20, 0xb9a8, v34
	v_sub_f16_e32 v2, v5, v2
	v_fma_f16 v15, v15, 2.0, -v46
	v_fma_f16 v22, v22, 2.0, -v49
	;; [unrolled: 1-line block ×4, first 2 shown]
	v_fmamk_f16 v18, v29, 0xb9a8, v33
	v_fmamk_f16 v34, v4, 0xb9a8, v19
	v_sub_f16_e32 v16, v32, v16
	v_fmac_f16_e32 v54, 0xb9a8, v26
	v_fmamk_f16 v7, v51, 0x3b64, v47
	v_add_f16_e32 v24, v14, v8
	v_add_f16_e32 v27, v0, v11
	v_sub_f16_e32 v31, v9, v17
	v_fmamk_f16 v26, v30, 0xb9a8, v22
	v_fmamk_f16 v44, v15, 0xb9a8, v6
	v_fmac_f16_e32 v18, 0x39a8, v15
	v_fmac_f16_e32 v34, 0x39a8, v30
	v_sub_f16_e32 v15, v2, v16
	v_fmac_f16_e32 v7, 0x361f, v54
	v_fmac_f16_e32 v26, 0xb9a8, v4
	;; [unrolled: 1-line block ×3, first 2 shown]
	v_fmamk_f16 v29, v34, 0x361f, v18
	v_fmamk_f16 v48, v31, 0x39a8, v15
	v_fma_f16 v1, v1, 2.0, -v8
	v_fma_f16 v10, v10, 2.0, -v14
	;; [unrolled: 1-line block ×9, first 2 shown]
	v_fmamk_f16 v35, v27, 0x39a8, v24
	v_fmac_f16_e32 v29, 0x3b64, v26
	v_fma_f16 v21, v21, 2.0, -v9
	v_fmac_f16_e32 v48, 0xb9a8, v27
	v_fma_f16 v5, v5, 2.0, -v2
	v_fma_f16 v45, v49, 2.0, -v54
	v_fmamk_f16 v47, v17, 0xb61f, v14
	v_fma_f16 v12, v12, 2.0, -v20
	v_fma_f16 v9, v9, 2.0, -v31
	v_fmamk_f16 v27, v11, 0xb9a8, v8
	v_fma_f16 v2, v2, 2.0, -v15
	v_fmac_f16_e32 v35, 0x39a8, v31
	v_fma_f16 v0, v23, 2.0, -v0
	v_fma_f16 v23, v18, 2.0, -v29
	v_sub_f16_e32 v10, v5, v10
	v_sub_f16_e32 v13, v3, v13
	v_fmac_f16_e32 v47, 0x3b64, v45
	v_fmamk_f16 v45, v45, 0xb61f, v12
	v_fmac_f16_e32 v27, 0x39a8, v9
	v_fmamk_f16 v9, v9, 0xb9a8, v2
	v_fma_f16 v18, v33, 2.0, -v18
	v_fma_f16 v19, v19, 2.0, -v34
	;; [unrolled: 1-line block ×3, first 2 shown]
	v_sub_f16_e32 v24, v10, v13
	v_fmac_f16_e32 v45, 0xbb64, v17
	v_fmac_f16_e32 v9, 0xb9a8, v11
	v_fma_f16 v11, v22, 2.0, -v26
	v_fmamk_f16 v17, v19, 0xbb64, v18
	v_fma_f16 v6, v6, 2.0, -v44
	v_fma_f16 v31, v10, 2.0, -v24
	;; [unrolled: 1-line block ×4, first 2 shown]
	v_fmac_f16_e32 v17, 0x361f, v11
	v_fmamk_f16 v10, v11, 0xbb64, v6
	scratch_load_b32 v11, off, off offset:4 th:TH_LOAD_LU ; 4-byte Folded Reload
	v_sub_f16_e32 v0, v21, v0
	v_sub_f16_e32 v16, v1, v16
	v_fma_f16 v3, v3, 2.0, -v13
	v_fmamk_f16 v30, v26, 0x361f, v44
	v_fmamk_f16 v4, v54, 0x3b64, v20
	v_fmac_f16_e32 v10, 0xb61f, v19
	v_add_f16_e32 v28, v16, v0
	v_fma_f16 v1, v1, 2.0, -v16
	v_fma_f16 v0, v21, 2.0, -v0
	v_fmac_f16_e32 v30, 0xbb64, v34
	v_fmac_f16_e32 v4, 0xb61f, v51
	v_fma_f16 v13, v18, 2.0, -v17
	v_sub_f16_e32 v3, v1, v3
	v_sub_f16_e32 v0, v5, v0
	v_fma_f16 v6, v6, 2.0, -v10
	v_fma_f16 v14, v14, 2.0, -v47
	;; [unrolled: 1-line block ×9, first 2 shown]
	v_pack_b32_f16 v1, v1, v5
	v_pack_b32_f16 v5, v13, v6
	v_fma_f16 v15, v15, 2.0, -v48
	v_fma_f16 v16, v20, 2.0, -v4
	v_pack_b32_f16 v2, v8, v2
	v_pack_b32_f16 v6, v14, v12
	v_pack_b32_f16 v12, v49, v31
	v_pack_b32_f16 v13, v23, v32
	v_pack_b32_f16 v0, v3, v0
	v_pack_b32_f16 v3, v17, v10
	v_pack_b32_f16 v4, v7, v4
	s_wait_loadcnt 0x0
	v_mad_u16 v11, 0x8c0, v11, v158
	s_delay_alu instid0(VALU_DEP_1) | instskip(NEXT) | instid1(VALU_DEP_1)
	v_and_b32_e32 v11, 0xffff, v11
	v_lshlrev_b32_e32 v11, 2, v11
	s_delay_alu instid0(VALU_DEP_1)
	v_add_nc_u32_e32 v8, 0x400, v11
	v_add_nc_u32_e32 v14, 0x800, v11
	ds_store_2addr_b32 v11, v1, v5 offset1:140
	ds_store_2addr_b32 v8, v2, v6 offset0:24 offset1:164
	ds_store_2addr_b32 v14, v12, v13 offset0:48 offset1:188
	v_pack_b32_f16 v1, v46, v15
	v_pack_b32_f16 v2, v25, v16
	v_add_nc_u32_e32 v5, 0xc00, v11
	v_add_nc_u32_e32 v6, 0x1000, v11
	v_pack_b32_f16 v8, v27, v9
	v_pack_b32_f16 v9, v47, v45
	v_add_nc_u32_e32 v10, 0x1500, v11
	v_pack_b32_f16 v12, v28, v24
	v_pack_b32_f16 v13, v29, v30
	v_add_nc_u32_e32 v14, 0x1a00, v11
	v_pack_b32_f16 v15, v35, v48
	v_add_nc_u32_e32 v7, 0x1e00, v11
	ds_store_2addr_b32 v5, v1, v2 offset0:72 offset1:212
	ds_store_2addr_b32 v6, v0, v3 offset0:96 offset1:236
	ds_store_2addr_b32 v10, v8, v9 offset0:56 offset1:196
	ds_store_2addr_b32 v14, v12, v13 offset0:16 offset1:156
	ds_store_2addr_b32 v7, v15, v4 offset0:40 offset1:180
.LBB0_29:
	s_wait_alu 0xfffe
	s_or_b32 exec_lo, exec_lo, s1
	global_wb scope:SCOPE_SE
	s_wait_dscnt 0x0
	s_barrier_signal -1
	s_barrier_wait -1
	global_inv scope:SCOPE_SE
	ds_load_2addr_stride64_b32 v[4:5], v107 offset1:7
	ds_load_2addr_stride64_b32 v[0:1], v107 offset0:28 offset1:35
	ds_load_2addr_stride64_b32 v[11:12], v107 offset0:70 offset1:77
	;; [unrolled: 1-line block ×11, first 2 shown]
	ds_load_b32 v33, v107 offset:43008
	s_mov_b32 s10, 0xe434a9b1
	s_mov_b32 s11, 0x3f1767dc
	s_wait_dscnt 0xc
	v_lshrrev_b32_e32 v10, 16, v4
	s_wait_dscnt 0xb
	v_lshrrev_b32_e32 v29, 16, v1
	s_wait_dscnt 0xa
	v_lshrrev_b32_e32 v30, 16, v11
	s_wait_dscnt 0x9
	v_lshrrev_b32_e32 v31, 16, v14
	s_wait_dscnt 0x8
	v_lshrrev_b32_e32 v32, 16, v15
	s_wait_dscnt 0x7
	v_lshrrev_b32_e32 v34, 16, v17
	v_mul_f16_e64 v54, v217, v29
	v_mul_f16_e64 v71, v211, v30
	v_lshrrev_b32_e32 v35, 16, v12
	v_mul_f16_e64 v72, v211, v11
	v_mul_f16_e64 v73, v216, v31
	v_fmac_f16_e32 v54, v40, v1
	v_mul_f16_e64 v1, v217, v1
	v_mul_f16_e64 v74, v216, v14
	v_fmac_f16_e32 v71, v41, v11
	v_mul_f16_e64 v11, v210, v17
	s_wait_dscnt 0x6
	v_lshrrev_b32_e32 v44, 16, v19
	v_fma_f16 v29, v40, v29, -v1
	v_mul_f16_e64 v1, v209, v15
	v_lshrrev_b32_e32 v45, 16, v16
	s_wait_dscnt 0x4
	v_lshrrev_b32_e32 v47, 16, v21
	v_fma_f16 v30, v41, v30, -v72
	v_fmac_f16_e32 v73, v42, v14
	v_fma_f16 v31, v42, v31, -v74
	v_mul_f16_e64 v40, v209, v32
	v_mul_f16_e64 v41, v210, v34
	;; [unrolled: 1-line block ×3, first 2 shown]
	v_fma_f16 v32, v43, v32, -v1
	v_fma_f16 v34, v36, v34, -v11
	v_mul_f16_e64 v1, v207, v12
	v_mul_f16_e64 v11, v205, v19
	v_lshrrev_b32_e32 v46, 16, v18
	s_wait_dscnt 0x3
	v_lshrrev_b32_e32 v49, 16, v23
	v_fmac_f16_e32 v40, v43, v15
	v_fmac_f16_e32 v41, v36, v17
	;; [unrolled: 1-line block ×3, first 2 shown]
	v_mul_f16_e64 v36, v205, v44
	v_mul_f16_e64 v43, v202, v45
	;; [unrolled: 1-line block ×3, first 2 shown]
	v_fma_f16 v35, v37, v35, -v1
	v_fma_f16 v37, v38, v44, -v11
	v_mul_f16_e64 v1, v245, v18
	v_mul_f16_e64 v44, v247, v47
	;; [unrolled: 1-line block ×3, first 2 shown]
	v_lshrrev_b32_e32 v48, 16, v20
	v_lshrrev_b32_e32 v51, 16, v22
	v_fmac_f16_e32 v36, v38, v19
	v_fmac_f16_e32 v43, v39, v16
	v_fma_f16 v38, v39, v45, -v12
	v_mul_f16_e64 v39, v245, v46
	v_fma_f16 v46, v56, v46, -v1
	v_fmac_f16_e32 v44, v57, v21
	v_fma_f16 v21, v57, v47, -v11
	v_mul_f16_e64 v1, v244, v20
	v_mul_f16_e64 v47, v246, v49
	;; [unrolled: 1-line block ×3, first 2 shown]
	s_wait_dscnt 0x2
	v_lshrrev_b32_e32 v50, 16, v25
	v_lshrrev_b32_e32 v53, 16, v24
	v_mul_f16_e64 v45, v244, v48
	v_fma_f16 v48, v58, v48, -v1
	v_fmac_f16_e32 v47, v59, v23
	v_fma_f16 v23, v59, v49, -v11
	v_mul_f16_e64 v49, v249, v51
	v_mul_f16_e64 v1, v249, v22
	s_wait_dscnt 0x1
	v_lshrrev_b32_e32 v52, 16, v27
	v_lshrrev_b32_e32 v55, 16, v26
	;; [unrolled: 1-line block ×3, first 2 shown]
	v_fmac_f16_e32 v39, v56, v18
	v_mul_f16_e64 v56, v251, v50
	v_mul_f16_e64 v12, v251, v25
	;; [unrolled: 1-line block ×3, first 2 shown]
	v_fmac_f16_e32 v49, v61, v22
	v_fma_f16 v22, v61, v51, -v1
	v_mul_f16_e64 v1, v248, v24
	v_lshrrev_b32_e32 v69, 16, v28
	s_wait_dscnt 0x0
	v_lshrrev_b32_e32 v70, 16, v33
	v_fmac_f16_e32 v56, v60, v25
	v_fma_f16 v25, v60, v50, -v12
	v_mul_f16_e64 v50, v250, v52
	v_mul_f16_e64 v11, v250, v27
	v_fmac_f16_e32 v57, v63, v24
	v_mul_f16_e64 v15, v254, v55
	v_mul_f16_e64 v14, v255, v68
	v_fma_f16 v24, v63, v53, -v1
	v_add_f16_e32 v1, v71, v73
	v_fmac_f16_e32 v50, v62, v27
	v_fma_f16 v27, v62, v52, -v11
	v_mul_f16_e64 v11, v254, v26
	v_mul_f16_e64 v12, v255, v13
	v_fmac_f16_e32 v15, v64, v26
	v_fmac_f16_e32 v14, v65, v13
	v_mul_f16_e64 v17, v253, v69
	v_mul_f16_e64 v13, v253, v28
	;; [unrolled: 1-line block ×3, first 2 shown]
	v_add_f16_e32 v18, v4, v54
	v_fma_f16 v1, -0.5, v1, v4
	v_sub_f16_e32 v51, v29, v32
	v_fmac_f16_e32 v45, v58, v20
	v_fmac_f16_e32 v17, v66, v28
	v_fma_f16 v16, v66, v69, -v13
	v_fmac_f16_e32 v26, v67, v33
	v_add_f16_e32 v18, v18, v71
	v_fmamk_f16 v13, v51, 0xbb9c, v1
	v_sub_f16_e32 v28, v30, v31
	v_sub_f16_e32 v19, v54, v71
	;; [unrolled: 1-line block ×3, first 2 shown]
	v_add_f16_e32 v52, v54, v40
	v_mul_f16_e64 v33, v252, v33
	v_fmac_f16_e32 v1, 0x3b9c, v51
	v_fma_f16 v11, v64, v55, -v11
	v_add_f16_e32 v18, v18, v73
	v_fmac_f16_e32 v13, 0xb8b4, v28
	v_add_f16_e32 v53, v19, v20
	v_fma_f16 v4, -0.5, v52, v4
	v_fma_f16 v20, v67, v70, -v33
	v_sub_f16_e32 v33, v71, v54
	v_sub_f16_e32 v52, v73, v40
	v_fmac_f16_e32 v1, 0x38b4, v28
	v_add_f16_e32 v55, v10, v29
	v_add_f16_e32 v58, v30, v31
	;; [unrolled: 1-line block ×3, first 2 shown]
	v_fmac_f16_e32 v13, 0x34f2, v53
	v_fmamk_f16 v19, v28, 0x3b9c, v4
	v_add_f16_e32 v33, v33, v52
	v_fmac_f16_e32 v4, 0xbb9c, v28
	v_add_f16_e32 v28, v55, v30
	v_fma_f16 v52, -0.5, v58, v10
	v_sub_f16_e32 v40, v54, v40
	v_fmac_f16_e32 v1, 0x34f2, v53
	v_add_f16_e32 v53, v29, v32
	v_sub_f16_e32 v55, v29, v30
	v_sub_f16_e32 v29, v30, v29
	;; [unrolled: 1-line block ×3, first 2 shown]
	v_fmac_f16_e32 v19, 0xb8b4, v51
	v_fmac_f16_e32 v4, 0x38b4, v51
	v_add_f16_e32 v28, v28, v31
	v_fmamk_f16 v51, v40, 0x3b9c, v52
	v_sub_f16_e32 v54, v71, v73
	v_sub_f16_e32 v58, v32, v31
	v_fmac_f16_e32 v10, -0.5, v53
	v_fmac_f16_e32 v52, 0xbb9c, v40
	v_add_f16_e32 v31, v42, v36
	v_add_f16_e32 v29, v29, v30
	;; [unrolled: 1-line block ×3, first 2 shown]
	v_lshrrev_b32_e32 v8, 16, v5
	v_fmac_f16_e32 v19, 0x34f2, v33
	v_fmac_f16_e32 v4, 0x34f2, v33
	v_add_f16_e32 v28, v28, v32
	v_fmac_f16_e32 v51, 0x38b4, v54
	v_add_f16_e32 v33, v55, v58
	v_fmamk_f16 v53, v54, 0xbb9c, v10
	v_fmac_f16_e32 v52, 0xb8b4, v54
	v_fma_f16 v31, -0.5, v31, v5
	v_sub_f16_e32 v32, v34, v38
	v_fmac_f16_e32 v10, 0x3b9c, v54
	v_add_f16_e32 v30, v30, v42
	v_sub_f16_e32 v55, v41, v42
	v_sub_f16_e32 v58, v43, v36
	v_add_f16_e32 v59, v41, v43
	v_fmac_f16_e32 v51, 0x34f2, v33
	v_fmac_f16_e32 v53, 0x38b4, v40
	v_fmac_f16_e32 v52, 0x34f2, v33
	v_fmamk_f16 v33, v32, 0xbb9c, v31
	v_sub_f16_e32 v54, v35, v37
	v_fmac_f16_e32 v10, 0xb8b4, v40
	v_add_f16_e32 v30, v30, v36
	v_add_f16_e32 v40, v55, v58
	v_fmac_f16_e32 v5, -0.5, v59
	v_fmac_f16_e32 v31, 0x3b9c, v32
	v_sub_f16_e32 v55, v42, v41
	v_sub_f16_e32 v58, v36, v43
	v_add_f16_e32 v59, v8, v34
	v_add_f16_e32 v60, v35, v37
	v_fmac_f16_e32 v53, 0x34f2, v29
	v_fmac_f16_e32 v33, 0xb8b4, v54
	;; [unrolled: 1-line block ×3, first 2 shown]
	v_add_f16_e32 v29, v30, v43
	v_fmamk_f16 v30, v54, 0x3b9c, v5
	v_fmac_f16_e32 v31, 0x38b4, v54
	v_add_f16_e32 v55, v55, v58
	v_fmac_f16_e32 v5, 0xbb9c, v54
	v_add_f16_e32 v54, v59, v35
	v_fma_f16 v58, -0.5, v60, v8
	v_sub_f16_e32 v41, v41, v43
	v_add_f16_e32 v43, v34, v38
	v_sub_f16_e32 v36, v42, v36
	v_sub_f16_e32 v42, v34, v35
	v_sub_f16_e32 v34, v35, v34
	v_sub_f16_e32 v35, v37, v38
	v_fmac_f16_e32 v33, 0x34f2, v40
	v_fmac_f16_e32 v30, 0xb8b4, v32
	;; [unrolled: 1-line block ×4, first 2 shown]
	v_add_f16_e32 v32, v54, v37
	v_fmamk_f16 v40, v41, 0x3b9c, v58
	v_sub_f16_e32 v54, v38, v37
	v_fmac_f16_e32 v8, -0.5, v43
	v_fmac_f16_e32 v58, 0xbb9c, v41
	v_add_f16_e32 v37, v44, v45
	v_add_f16_e32 v34, v34, v35
	;; [unrolled: 1-line block ×3, first 2 shown]
	v_lshrrev_b32_e32 v9, 16, v2
	v_add_f16_e32 v32, v32, v38
	v_fmac_f16_e32 v40, 0x38b4, v36
	v_add_f16_e32 v42, v42, v54
	v_fmamk_f16 v43, v36, 0xbb9c, v8
	v_fmac_f16_e32 v58, 0xb8b4, v36
	v_fma_f16 v37, -0.5, v37, v2
	v_sub_f16_e32 v38, v46, v23
	v_fmac_f16_e32 v8, 0x3b9c, v36
	v_add_f16_e32 v35, v35, v44
	v_add_f16_e32 v59, v39, v47
	v_fmac_f16_e32 v40, 0x34f2, v42
	v_fmac_f16_e32 v43, 0x38b4, v41
	;; [unrolled: 1-line block ×3, first 2 shown]
	v_fmamk_f16 v36, v38, 0xbb9c, v37
	v_sub_f16_e32 v42, v21, v48
	v_fmac_f16_e32 v8, 0xb8b4, v41
	v_add_f16_e32 v35, v35, v45
	v_fma_f16 v2, -0.5, v59, v2
	v_fmac_f16_e32 v37, 0x3b9c, v38
	v_add_f16_e32 v59, v9, v46
	v_fmac_f16_e32 v30, 0x34f2, v55
	v_fmac_f16_e32 v5, 0x34f2, v55
	;; [unrolled: 1-line block ×3, first 2 shown]
	v_sub_f16_e32 v54, v39, v44
	v_sub_f16_e32 v55, v47, v45
	v_fmac_f16_e32 v36, 0xb8b4, v42
	v_fmac_f16_e32 v8, 0x34f2, v34
	v_add_f16_e32 v34, v35, v47
	v_fmamk_f16 v35, v42, 0x3b9c, v2
	v_fmac_f16_e32 v37, 0x38b4, v42
	v_fmac_f16_e32 v2, 0xbb9c, v42
	v_add_f16_e32 v42, v59, v21
	v_add_f16_e32 v41, v54, v55
	v_sub_f16_e32 v54, v44, v39
	v_sub_f16_e32 v55, v45, v47
	v_add_f16_e32 v60, v21, v48
	v_fmac_f16_e32 v35, 0xb8b4, v38
	v_fmac_f16_e32 v2, 0x38b4, v38
	v_add_f16_e32 v38, v42, v48
	v_add_f16_e32 v54, v54, v55
	v_fma_f16 v55, -0.5, v60, v9
	v_sub_f16_e32 v39, v39, v47
	v_add_f16_e32 v42, v46, v23
	v_sub_f16_e32 v44, v44, v45
	v_sub_f16_e32 v45, v46, v21
	;; [unrolled: 1-line block ×3, first 2 shown]
	v_add_f16_e32 v38, v38, v23
	v_sub_f16_e32 v21, v21, v46
	v_sub_f16_e32 v23, v48, v23
	v_fmac_f16_e32 v36, 0x34f2, v41
	v_fmac_f16_e32 v37, 0x34f2, v41
	v_fmamk_f16 v41, v39, 0x3b9c, v55
	v_fmac_f16_e32 v9, -0.5, v42
	v_fmac_f16_e32 v55, 0xbb9c, v39
	v_add_f16_e32 v46, v49, v50
	v_add_f16_e32 v21, v21, v23
	;; [unrolled: 1-line block ×3, first 2 shown]
	v_lshrrev_b32_e32 v7, 16, v3
	v_fmac_f16_e32 v41, 0x38b4, v44
	v_add_f16_e32 v42, v45, v47
	v_fmamk_f16 v45, v44, 0xbb9c, v9
	v_fmac_f16_e32 v55, 0xb8b4, v44
	v_fma_f16 v46, -0.5, v46, v3
	v_sub_f16_e32 v47, v25, v24
	v_fmac_f16_e32 v9, 0x3b9c, v44
	v_add_f16_e32 v23, v23, v49
	v_add_f16_e32 v59, v56, v57
	v_fmac_f16_e32 v35, 0x34f2, v54
	v_fmac_f16_e32 v2, 0x34f2, v54
	;; [unrolled: 1-line block ×5, first 2 shown]
	v_fmamk_f16 v42, v47, 0xbb9c, v46
	v_sub_f16_e32 v44, v22, v27
	v_sub_f16_e32 v48, v56, v49
	;; [unrolled: 1-line block ×3, first 2 shown]
	v_fmac_f16_e32 v9, 0xb8b4, v39
	v_add_f16_e32 v23, v23, v50
	v_fmac_f16_e32 v3, -0.5, v59
	v_fmac_f16_e32 v46, 0x3b9c, v47
	v_add_f16_e32 v59, v7, v25
	v_fmac_f16_e32 v45, 0x34f2, v21
	v_fmac_f16_e32 v42, 0xb8b4, v44
	v_add_f16_e32 v39, v48, v54
	v_fmac_f16_e32 v9, 0x34f2, v21
	v_add_f16_e32 v21, v23, v57
	v_fmamk_f16 v23, v44, 0x3b9c, v3
	v_sub_f16_e32 v48, v49, v56
	v_sub_f16_e32 v54, v50, v57
	v_fmac_f16_e32 v46, 0x38b4, v44
	v_add_f16_e32 v60, v22, v27
	v_fmac_f16_e32 v3, 0xbb9c, v44
	v_add_f16_e32 v44, v59, v22
	v_fmac_f16_e32 v42, 0x34f2, v39
	v_fmac_f16_e32 v23, 0xb8b4, v47
	v_add_f16_e32 v48, v48, v54
	v_fma_f16 v54, -0.5, v60, v7
	v_sub_f16_e32 v56, v56, v57
	v_fmac_f16_e32 v46, 0x34f2, v39
	v_fmac_f16_e32 v3, 0x38b4, v47
	v_add_f16_e32 v39, v44, v27
	v_add_f16_e32 v47, v25, v24
	v_fmamk_f16 v44, v56, 0x3b9c, v54
	v_sub_f16_e32 v49, v49, v50
	v_sub_f16_e32 v50, v25, v22
	;; [unrolled: 1-line block ×3, first 2 shown]
	v_fmac_f16_e32 v7, -0.5, v47
	v_add_f16_e32 v39, v39, v24
	v_fmac_f16_e32 v54, 0xbb9c, v56
	v_sub_f16_e32 v22, v22, v25
	v_sub_f16_e32 v24, v27, v24
	v_add_f16_e32 v25, v14, v17
	v_fma_f16 v12, v65, v68, -v12
	v_fmac_f16_e32 v23, 0x34f2, v48
	v_fmac_f16_e32 v3, 0x34f2, v48
	;; [unrolled: 1-line block ×3, first 2 shown]
	v_add_f16_e32 v47, v50, v57
	v_fmamk_f16 v48, v49, 0xbb9c, v7
	v_fmac_f16_e32 v54, 0xb8b4, v49
	v_add_f16_e32 v22, v22, v24
	v_fmac_f16_e32 v7, 0x3b9c, v49
	v_add_f16_e32 v24, v0, v15
	v_fma_f16 v25, -0.5, v25, v0
	v_sub_f16_e32 v27, v11, v20
	v_fmac_f16_e32 v44, 0x34f2, v47
	v_fmac_f16_e32 v48, 0x38b4, v56
	;; [unrolled: 1-line block ×4, first 2 shown]
	v_add_f16_e32 v24, v24, v14
	v_fmamk_f16 v47, v27, 0xbb9c, v25
	v_sub_f16_e32 v49, v12, v16
	v_sub_f16_e32 v50, v15, v14
	;; [unrolled: 1-line block ×3, first 2 shown]
	v_fmac_f16_e32 v25, 0x3b9c, v27
	v_add_f16_e32 v57, v15, v26
	v_lshrrev_b32_e32 v6, 16, v0
	v_add_f16_e32 v24, v24, v17
	v_fmac_f16_e32 v47, 0xb8b4, v49
	v_add_f16_e32 v50, v50, v56
	v_fmac_f16_e32 v25, 0x38b4, v49
	v_fmac_f16_e32 v0, -0.5, v57
	v_sub_f16_e32 v56, v14, v15
	v_sub_f16_e32 v57, v17, v26
	v_fmac_f16_e32 v48, 0x34f2, v22
	v_fmac_f16_e32 v7, 0x34f2, v22
	v_add_f16_e32 v22, v24, v26
	v_fmac_f16_e32 v47, 0x34f2, v50
	v_fmac_f16_e32 v25, 0x34f2, v50
	v_fmamk_f16 v24, v49, 0x3b9c, v0
	v_add_f16_e32 v50, v12, v16
	v_fmac_f16_e32 v0, 0xbb9c, v49
	v_sub_f16_e32 v15, v15, v26
	v_add_f16_e32 v26, v56, v57
	v_add_f16_e32 v56, v11, v20
	;; [unrolled: 1-line block ×3, first 2 shown]
	v_fma_f16 v50, -0.5, v50, v6
	v_fmac_f16_e32 v24, 0xb8b4, v27
	v_fmac_f16_e32 v0, 0x38b4, v27
	v_sub_f16_e32 v14, v14, v17
	v_fmac_f16_e32 v6, -0.5, v56
	v_add_f16_e32 v27, v49, v12
	v_fmac_f16_e32 v24, 0x34f2, v26
	v_fmac_f16_e32 v0, 0x34f2, v26
	v_sub_f16_e32 v26, v11, v12
	v_fmamk_f16 v56, v14, 0xbb9c, v6
	v_sub_f16_e32 v11, v12, v11
	v_sub_f16_e32 v12, v16, v20
	v_fmac_f16_e32 v6, 0x3b9c, v14
	v_fmamk_f16 v49, v15, 0x3b9c, v50
	v_fmac_f16_e32 v50, 0xbb9c, v15
	v_fmac_f16_e32 v56, 0x38b4, v15
	v_add_f16_e32 v11, v11, v12
	v_fmac_f16_e32 v6, 0xb8b4, v15
	v_fmac_f16_e32 v49, 0x38b4, v14
	v_fmac_f16_e32 v50, 0xb8b4, v14
	v_pack_b32_f16 v14, v19, v53
	v_pack_b32_f16 v4, v4, v10
	;; [unrolled: 1-line block ×4, first 2 shown]
	v_fmac_f16_e32 v56, 0x34f2, v11
	v_fmac_f16_e32 v6, 0x34f2, v11
	v_pack_b32_f16 v11, v18, v28
	v_pack_b32_f16 v13, v29, v32
	v_add_f16_e32 v17, v27, v16
	v_sub_f16_e32 v27, v20, v16
	ds_store_b32 v107, v14 offset:17920
	ds_store_b32 v107, v4 offset:26880
	;; [unrolled: 1-line block ×4, first 2 shown]
	ds_store_2addr_stride64_b32 v107, v11, v13 offset1:7
	v_pack_b32_f16 v1, v33, v40
	v_pack_b32_f16 v10, v36, v41
	v_pack_b32_f16 v4, v30, v43
	v_pack_b32_f16 v13, v35, v45
	v_add_f16_e32 v16, v26, v27
	v_pack_b32_f16 v5, v5, v8
	v_pack_b32_f16 v11, v34, v38
	;; [unrolled: 1-line block ×3, first 2 shown]
	ds_store_2addr_stride64_b32 v107, v1, v10 offset0:42 offset1:49
	v_pack_b32_f16 v1, v21, v39
	v_pack_b32_f16 v8, v31, v58
	;; [unrolled: 1-line block ×3, first 2 shown]
	v_add_f16_e32 v12, v17, v20
	ds_store_2addr_stride64_b32 v107, v4, v13 offset0:77 offset1:84
	ds_store_2addr_stride64_b32 v107, v5, v2 offset0:112 offset1:119
	;; [unrolled: 1-line block ×3, first 2 shown]
	v_pack_b32_f16 v2, v3, v7
	v_fmac_f16_e32 v49, 0x34f2, v16
	ds_store_2addr_stride64_b32 v107, v11, v1 offset0:14 offset1:21
	v_pack_b32_f16 v1, v46, v54
	v_fmac_f16_e32 v50, 0x34f2, v16
	v_pack_b32_f16 v4, v23, v48
	ds_store_b32 v107, v2 offset:32256
	v_pack_b32_f16 v2, v22, v12
	ds_store_b32 v107, v1 offset:41216
	v_pack_b32_f16 v3, v42, v44
	v_pack_b32_f16 v1, v47, v49
	;; [unrolled: 1-line block ×5, first 2 shown]
	ds_store_b32 v107, v4 offset:23296
	ds_store_b32 v107, v2 offset:7168
	ds_store_2addr_stride64_b32 v107, v3, v1 offset0:56 offset1:63
	ds_store_b32 v107, v0 offset:34048
	ds_store_b32 v107, v5 offset:25088
	;; [unrolled: 1-line block ×3, first 2 shown]
	global_wb scope:SCOPE_SE
	s_wait_dscnt 0x0
	s_barrier_signal -1
	s_barrier_wait -1
	global_inv scope:SCOPE_SE
	ds_load_2addr_stride64_b32 v[3:4], v107 offset1:7
	v_lshrrev_b32_e32 v5, 16, v154
	v_mad_co_u64_u32 v[12:13], null, s6, v80, 0
	v_add_nc_u32_e32 v9, 0xc0, v107
	v_lshrrev_b32_e32 v16, 16, v152
	v_lshrrev_b32_e32 v26, 16, v151
	v_lshrrev_b32_e32 v32, 16, v149
	s_wait_dscnt 0x0
	v_lshrrev_b32_e32 v2, 16, v3
	s_delay_alu instid0(VALU_DEP_1) | instskip(NEXT) | instid1(VALU_DEP_1)
	v_mul_f16_e32 v0, v5, v2
	v_fmac_f16_e64 v0, v154, v3
	v_mul_f16_e32 v3, v5, v3
	s_delay_alu instid0(VALU_DEP_2) | instskip(NEXT) | instid1(VALU_DEP_2)
	v_cvt_f32_f16_e32 v0, v0
	v_fma_f16 v2, v154, v2, -v3
	s_delay_alu instid0(VALU_DEP_2) | instskip(NEXT) | instid1(VALU_DEP_2)
	v_cvt_f64_f32_e32 v[0:1], v0
	v_cvt_f32_f16_e32 v2, v2
	s_delay_alu instid0(VALU_DEP_1)
	v_cvt_f64_f32_e32 v[5:6], v2
	ds_load_2addr_stride64_b32 v[2:3], v9 offset0:43 offset1:50
	s_wait_alu 0xfffe
	v_mul_f64_e32 v[7:8], s[10:11], v[0:1]
	s_wait_dscnt 0x0
	v_lshrrev_b32_e32 v0, 16, v2
	v_mul_f64_e32 v[5:6], s[10:11], v[5:6]
	s_delay_alu instid0(VALU_DEP_2) | instskip(NEXT) | instid1(VALU_DEP_1)
	v_mul_f16_e32 v1, v16, v0
	v_fmac_f16_e64 v1, v152, v2
	v_mul_f16_e32 v2, v16, v2
	s_delay_alu instid0(VALU_DEP_2) | instskip(NEXT) | instid1(VALU_DEP_2)
	v_cvt_f32_f16_e32 v1, v1
	v_fma_f16 v2, v152, v0, -v2
	v_mov_b32_e32 v0, v13
	s_delay_alu instid0(VALU_DEP_3) | instskip(NEXT) | instid1(VALU_DEP_3)
	v_cvt_f64_f32_e32 v[10:11], v1
	v_cvt_f32_f16_e32 v2, v2
	v_and_or_b32 v7, 0x1ff, v8, v7
	v_lshrrev_b32_e32 v1, 8, v8
	v_bfe_u32 v14, v8, 20, 11
	v_lshrrev_b32_e32 v8, 16, v8
	s_delay_alu instid0(VALU_DEP_4)
	v_cmp_ne_u32_e64 s0, 0, v7
	v_and_or_b32 v5, 0x1ff, v6, v5
	v_lshrrev_b32_e32 v15, 8, v6
	v_bfe_u32 v19, v6, 20, 11
	v_add_nc_u32_e32 v20, 0xfffffc10, v14
	s_wait_alu 0xf1ff
	v_cndmask_b32_e64 v7, 0, 1, s0
	v_cmp_ne_u32_e64 s0, 0, v5
	v_lshrrev_b32_e32 v6, 16, v6
	s_delay_alu instid0(VALU_DEP_3) | instskip(SKIP_3) | instid1(VALU_DEP_3)
	v_and_or_b32 v18, 0xffe, v1, v7
	v_sub_nc_u32_e32 v1, 0x3f1, v14
	s_wait_alu 0xf1ff
	v_cndmask_b32_e64 v5, 0, 1, s0
	v_or_b32_e32 v7, 0x1000, v18
	s_delay_alu instid0(VALU_DEP_3) | instskip(NEXT) | instid1(VALU_DEP_3)
	v_med3_i32 v1, v1, 0, 13
	v_and_or_b32 v5, 0xffe, v15, v5
	v_sub_nc_u32_e32 v15, 0x3f1, v19
	v_mul_f64_e32 v[10:11], s[10:11], v[10:11]
	v_lshl_or_b32 v23, v20, 12, v18
	v_lshrrev_b32_e32 v16, v1, v7
	v_or_b32_e32 v13, 0x1000, v5
	v_med3_i32 v17, v15, 0, 13
	v_cvt_f64_f32_e32 v[14:15], v2
	s_delay_alu instid0(VALU_DEP_4) | instskip(NEXT) | instid1(VALU_DEP_3)
	v_lshlrev_b32_e32 v1, v1, v16
	v_lshrrev_b32_e32 v21, v17, v13
	s_delay_alu instid0(VALU_DEP_2) | instskip(SKIP_1) | instid1(VALU_DEP_3)
	v_cmp_ne_u32_e64 s0, v1, v7
	v_add_nc_u32_e32 v7, 0x80, v107
	v_lshlrev_b32_e32 v24, v17, v21
	s_wait_alu 0xf1ff
	s_delay_alu instid0(VALU_DEP_3) | instskip(SKIP_1) | instid1(VALU_DEP_2)
	v_cndmask_b32_e64 v1, 0, 1, s0
	v_cmp_gt_i32_e64 s0, 1, v20
	v_or_b32_e32 v22, v16, v1
	ds_load_2addr_stride64_b32 v[1:2], v7 offset0:87 offset1:94
	v_and_or_b32 v10, 0x1ff, v11, v10
	s_wait_dscnt 0x0
	v_mad_co_u64_u32 v[16:17], null, s7, v80, v[0:1]
	s_wait_alu 0xf1ff
	v_cndmask_b32_e64 v0, v23, v22, s0
	v_cmp_ne_u32_e64 s0, v24, v13
	v_add_nc_u32_e32 v22, 0xfffffc10, v19
	v_mul_f64_e32 v[14:15], s[10:11], v[14:15]
	s_mul_u64 s[6:7], s[4:5], 0xaf0
	v_and_b32_e32 v19, 7, v0
	s_wait_alu 0xf1ff
	v_cndmask_b32_e64 v17, 0, 1, s0
	v_lshrrev_b32_e32 v0, 2, v0
	v_mov_b32_e32 v13, v16
	v_cmp_gt_i32_e64 s2, 1, v22
	v_cmp_lt_i32_e64 s0, 5, v19
	v_cmp_eq_u32_e64 s1, 3, v19
	v_or_b32_e32 v16, v21, v17
	v_lshl_or_b32 v17, v22, 12, v5
	v_lshrrev_b32_e32 v21, 16, v1
	s_wait_alu 0xfffe
	s_lshl_b64 s[6:7], s[6:7], 2
	s_or_b32 s0, s1, s0
	s_wait_alu 0xfffe
	v_add_co_ci_u32_e64 v0, s0, 0, v0, s0
	v_cndmask_b32_e64 v16, v17, v16, s2
	v_cmp_ne_u32_e64 s0, 0, v18
	v_mul_f16_e32 v19, v26, v21
	v_cmp_eq_u32_e64 s2, 0x40f, v20
	s_delay_alu instid0(VALU_DEP_4)
	v_and_b32_e32 v18, 7, v16
	s_wait_alu 0xf1ff
	v_cndmask_b32_e64 v17, 0, 1, s0
	v_cmp_gt_i32_e64 s0, 31, v20
	v_fmac_f16_e64 v19, v151, v1
	v_lshrrev_b32_e32 v16, 2, v16
	v_cmp_eq_u32_e64 s1, 3, v18
	v_lshl_or_b32 v17, v17, 9, 0x7c00
	s_wait_alu 0xf1ff
	v_cndmask_b32_e64 v0, 0x7c00, v0, s0
	v_cmp_lt_i32_e64 s0, 5, v18
	v_bfe_u32 v20, v11, 20, 11
	v_mul_f16_e32 v1, v26, v1
	s_delay_alu instid0(VALU_DEP_4) | instskip(NEXT) | instid1(VALU_DEP_4)
	v_cndmask_b32_e64 v0, v0, v17, s2
	s_or_b32 s0, s1, s0
	v_cvt_f32_f16_e32 v17, v19
	s_wait_alu 0xfffe
	v_add_co_ci_u32_e64 v18, s0, 0, v16, s0
	v_cmp_ne_u32_e64 s0, 0, v10
	v_lshrrev_b32_e32 v19, 8, v11
	v_cvt_f64_f32_e32 v[16:17], v17
	v_sub_nc_u32_e32 v24, 0x3f1, v20
	s_wait_alu 0xf1ff
	v_cndmask_b32_e64 v10, 0, 1, s0
	v_cmp_ne_u32_e64 s0, 0, v5
	s_delay_alu instid0(VALU_DEP_3) | instskip(NEXT) | instid1(VALU_DEP_3)
	v_med3_i32 v24, v24, 0, 13
	v_and_or_b32 v10, 0xffe, v19, v10
	s_wait_alu 0xf1ff
	s_delay_alu instid0(VALU_DEP_3) | instskip(SKIP_1) | instid1(VALU_DEP_3)
	v_cndmask_b32_e64 v5, 0, 1, s0
	v_cmp_gt_i32_e64 s0, 31, v22
	v_or_b32_e32 v25, 0x1000, v10
	s_delay_alu instid0(VALU_DEP_3) | instskip(SKIP_1) | instid1(VALU_DEP_3)
	v_lshl_or_b32 v5, v5, 9, 0x7c00
	s_wait_alu 0xf1ff
	v_cndmask_b32_e64 v23, 0x7c00, v18, s0
	v_mad_co_u64_u32 v[18:19], null, s4, v146, 0
	v_cmp_eq_u32_e64 s0, 0x40f, v22
	v_lshrrev_b32_e32 v22, v24, v25
	s_wait_alu 0xf1ff
	s_delay_alu instid0(VALU_DEP_2)
	v_cndmask_b32_e64 v5, v23, v5, s0
	v_and_or_b32 v23, 0x8000, v8, v0
	v_mov_b32_e32 v0, v19
	v_lshlrev_b32_e32 v8, v24, v22
	v_bfe_u32 v24, v15, 20, 11
	v_and_or_b32 v26, 0x8000, v6, v5
	s_delay_alu instid0(VALU_DEP_4)
	v_mad_co_u64_u32 v[5:6], null, s5, v146, v[0:1]
	v_fma_f16 v0, v151, v21, -v1
	v_and_or_b32 v1, 0x1ff, v15, v14
	v_cmp_ne_u32_e64 s0, v8, v25
	v_add_nc_u32_e32 v14, 0xfffffc10, v20
	v_lshrrev_b32_e32 v8, 8, v15
	v_cvt_f32_f16_e32 v0, v0
	v_mov_b32_e32 v19, v5
	s_wait_alu 0xf1ff
	v_cndmask_b32_e64 v6, 0, 1, s0
	v_cmp_ne_u32_e64 s0, 0, v1
	v_mul_f64_e32 v[16:17], s[10:11], v[16:17]
	v_cvt_f64_f32_e32 v[20:21], v0
	v_lshrrev_b32_e32 v15, 16, v15
	v_or_b32_e32 v0, v22, v6
	s_wait_alu 0xf1ff
	v_cndmask_b32_e64 v1, 0, 1, s0
	v_lshl_or_b32 v6, v14, 12, v10
	v_cmp_gt_i32_e64 s0, 1, v14
	s_delay_alu instid0(VALU_DEP_3) | instskip(SKIP_2) | instid1(VALU_DEP_3)
	v_and_or_b32 v22, 0xffe, v8, v1
	v_sub_nc_u32_e32 v1, 0x3f1, v24
	s_wait_alu 0xf1ff
	v_cndmask_b32_e64 v25, v6, v0, s0
	v_add_nc_u32_e32 v8, 64, v107
	v_and_b32_e32 v6, 0xffff, v23
	v_or_b32_e32 v23, 0x1000, v22
	v_med3_i32 v27, v1, 0, 13
	v_and_b32_e32 v28, 7, v25
	ds_load_2addr_stride64_b32 v[0:1], v8 offset0:131 offset1:138
	v_lshl_or_b32 v26, v26, 16, v6
	v_lshlrev_b64_e32 v[5:6], 2, v[12:13]
	v_lshrrev_b32_e32 v29, v27, v23
	v_cmp_lt_i32_e64 s0, 5, v28
	v_cmp_eq_u32_e64 s1, 3, v28
	v_lshrrev_b32_e32 v12, 2, v25
	s_delay_alu instid0(VALU_DEP_4) | instskip(SKIP_1) | instid1(VALU_DEP_4)
	v_lshlrev_b32_e32 v13, v27, v29
	v_add_co_u32 v25, s2, s8, v5
	s_or_b32 s0, s1, s0
	v_add_co_ci_u32_e64 v27, s2, s9, v6, s2
	s_wait_alu 0xfffe
	v_add_co_ci_u32_e64 v5, s0, 0, v12, s0
	v_cmp_ne_u32_e64 s0, v13, v23
	v_add_nc_u32_e32 v23, 0xfffffc10, v24
	s_wait_dscnt 0x0
	v_lshrrev_b32_e32 v24, 16, v0
	s_wait_alu 0xf1ff
	v_cndmask_b32_e64 v6, 0, 1, s0
	v_cmp_gt_i32_e64 s0, 31, v14
	v_lshl_or_b32 v13, v23, 12, v22
	v_and_or_b32 v16, 0x1ff, v17, v16
	s_delay_alu instid0(VALU_DEP_4)
	v_or_b32_e32 v12, v29, v6
	s_wait_alu 0xf1ff
	v_cndmask_b32_e64 v28, 0x7c00, v5, s0
	v_cmp_ne_u32_e64 s0, 0, v10
	v_mul_f16_e32 v29, v32, v24
	v_mul_f64_e32 v[5:6], s[10:11], v[20:21]
	v_bfe_u32 v21, v17, 20, 11
	s_wait_alu 0xf1ff
	v_cndmask_b32_e64 v10, 0, 1, s0
	v_cmp_gt_i32_e64 s0, 1, v23
	v_fmac_f16_e64 v29, v149, v0
	v_mul_f16_e32 v0, v32, v0
	s_delay_alu instid0(VALU_DEP_4)
	v_lshl_or_b32 v10, v10, 9, 0x7c00
	s_wait_alu 0xf1ff
	v_cndmask_b32_e64 v20, v13, v12, s0
	v_cmp_ne_u32_e64 s0, 0, v16
	v_lshrrev_b32_e32 v13, 8, v17
	v_cvt_f32_f16_e32 v16, v29
	v_fma_f16 v0, v149, v24, -v0
	v_and_b32_e32 v29, 7, v20
	s_wait_alu 0xf1ff
	v_cndmask_b32_e64 v12, 0, 1, s0
	v_cmp_eq_u32_e64 s0, 0x40f, v14
	v_lshrrev_b32_e32 v17, 16, v17
	v_cvt_f32_f16_e32 v0, v0
	v_cmp_eq_u32_e64 s1, 3, v29
	v_and_or_b32 v30, 0xffe, v13, v12
	v_cvt_f64_f32_e32 v[12:13], v16
	v_sub_nc_u32_e32 v16, 0x3f1, v21
	s_wait_alu 0xf1ff
	v_cndmask_b32_e64 v14, v28, v10, s0
	v_cmp_lt_i32_e64 s0, 5, v29
	v_lshrrev_b32_e32 v28, 16, v11
	v_lshlrev_b64_e32 v[10:11], 2, v[18:19]
	v_lshrrev_b32_e32 v18, 2, v20
	v_or_b32_e32 v31, 0x1000, v30
	v_med3_i32 v16, v16, 0, 13
	s_or_b32 s0, s1, s0
	v_add_nc_u32_e32 v21, 0xfffffc10, v21
	s_wait_alu 0xfffe
	v_add_co_ci_u32_e64 v18, s0, 0, v18, s0
	v_lshrrev_b32_e32 v19, v16, v31
	v_cmp_ne_u32_e64 s0, 0, v22
	v_lshl_or_b32 v24, v21, 12, v30
	v_and_or_b32 v14, 0x8000, v28, v14
	v_and_or_b32 v5, 0x1ff, v6, v5
	v_lshlrev_b32_e32 v16, v16, v19
	s_wait_alu 0xf1ff
	v_cndmask_b32_e64 v20, 0, 1, s0
	v_cmp_gt_i32_e64 s0, 31, v23
	v_lshrrev_b32_e32 v22, 8, v6
	v_and_b32_e32 v14, 0xffff, v14
	v_lshrrev_b32_e32 v28, 16, v145
	v_lshl_or_b32 v20, v20, 9, 0x7c00
	s_wait_alu 0xf1ff
	v_cndmask_b32_e64 v18, 0x7c00, v18, s0
	v_cmp_ne_u32_e64 s0, v16, v31
	v_lshrrev_b32_e32 v31, 16, v133
	s_wait_alu 0xf1ff
	s_delay_alu instid0(VALU_DEP_2) | instskip(SKIP_3) | instid1(VALU_DEP_4)
	v_cndmask_b32_e64 v16, 0, 1, s0
	v_cmp_eq_u32_e64 s0, 0x40f, v23
	v_bfe_u32 v23, v6, 20, 11
	v_lshrrev_b32_e32 v6, 16, v6
	v_or_b32_e32 v16, v19, v16
	s_wait_alu 0xf1ff
	v_cndmask_b32_e64 v20, v18, v20, s0
	v_cmp_ne_u32_e64 s0, 0, v5
	v_cvt_f64_f32_e32 v[18:19], v0
	v_mul_f64_e32 v[12:13], s[10:11], v[12:13]
	s_delay_alu instid0(VALU_DEP_4) | instskip(SKIP_3) | instid1(VALU_DEP_2)
	v_and_or_b32 v15, 0x8000, v15, v20
	s_wait_alu 0xf1ff
	v_cndmask_b32_e64 v5, 0, 1, s0
	v_cmp_gt_i32_e64 s0, 1, v21
	v_and_or_b32 v0, 0xffe, v22, v5
	v_sub_nc_u32_e32 v5, 0x3f1, v23
	s_wait_alu 0xf1ff
	s_delay_alu instid0(VALU_DEP_3) | instskip(SKIP_3) | instid1(VALU_DEP_4)
	v_cndmask_b32_e64 v16, v24, v16, s0
	v_add_co_u32 v10, s0, v25, v10
	v_or_b32_e32 v22, 0x1000, v0
	v_med3_i32 v5, v5, 0, 13
	v_and_b32_e32 v24, 7, v16
	s_wait_alu 0xf1ff
	v_add_co_ci_u32_e64 v11, s0, v27, v11, s0
	v_lshl_or_b32 v25, v15, 16, v14
	v_lshrrev_b32_e32 v20, v5, v22
	v_cmp_lt_i32_e64 s0, 5, v24
	v_cmp_eq_u32_e64 s1, 3, v24
	v_lshrrev_b32_e32 v14, 2, v16
	v_add_nc_u32_e32 v16, 0xfffffc10, v23
	v_lshlrev_b32_e32 v5, v5, v20
	v_lshrrev_b32_e32 v23, 16, v4
	s_or_b32 s0, s1, s0
	global_store_b32 v[10:11], v26, off
	v_cmp_ne_u32_e64 s2, v5, v22
	s_wait_alu 0xfffe
	v_add_co_ci_u32_e64 v22, s0, 0, v14, s0
	v_cmp_ne_u32_e64 s0, 0, v30
	v_lshl_or_b32 v14, v16, 12, v0
	s_wait_alu 0xf1ff
	v_cndmask_b32_e64 v5, 0, 1, s2
	v_mul_f16_e32 v24, v28, v23
	v_cmp_eq_u32_e64 s2, 0x40f, v21
	v_and_or_b32 v12, 0x1ff, v13, v12
	s_delay_alu instid0(VALU_DEP_4)
	v_or_b32_e32 v5, v20, v5
	v_cndmask_b32_e64 v20, 0, 1, s0
	v_cmp_gt_i32_e64 s0, 1, v16
	v_fmac_f16_e64 v24, v145, v4
	v_bfe_u32 v27, v13, 20, 11
	v_mul_f16_e32 v4, v28, v4
	v_lshl_or_b32 v20, v20, 9, 0x7c00
	s_wait_alu 0xf1ff
	v_cndmask_b32_e64 v5, v14, v5, s0
	v_mul_f64_e32 v[14:15], s[10:11], v[18:19]
	v_cmp_gt_i32_e64 s0, 31, v21
	v_cvt_f32_f16_e32 v18, v24
	v_lshrrev_b32_e32 v24, 8, v13
	v_and_b32_e32 v26, 7, v5
	v_lshrrev_b32_e32 v5, 2, v5
	s_wait_alu 0xf1ff
	v_cndmask_b32_e64 v22, 0x7c00, v22, s0
	v_cmp_ne_u32_e64 s0, 0, v12
	v_cvt_f64_f32_e32 v[18:19], v18
	v_cmp_eq_u32_e64 s1, 3, v26
	v_fma_f16 v4, v145, v23, -v4
	v_cndmask_b32_e64 v20, v22, v20, s2
	s_wait_alu 0xf1ff
	v_cndmask_b32_e64 v12, 0, 1, s0
	v_cmp_lt_i32_e64 s0, 5, v26
	v_lshrrev_b32_e32 v28, 16, v142
	v_cvt_f32_f16_e32 v4, v4
	v_and_or_b32 v20, 0x8000, v17, v20
	v_and_or_b32 v12, 0xffe, v24, v12
	v_sub_nc_u32_e32 v24, 0x3f1, v27
	s_or_b32 s0, s1, s0
	v_lshrrev_b32_e32 v13, 16, v13
	s_wait_alu 0xfffe
	v_add_co_ci_u32_e64 v5, s0, 0, v5, s0
	v_or_b32_e32 v21, 0x1000, v12
	v_med3_i32 v22, v24, 0, 13
	v_cmp_ne_u32_e64 s0, 0, v0
	s_delay_alu instid0(VALU_DEP_2) | instskip(SKIP_1) | instid1(VALU_DEP_2)
	v_lshrrev_b32_e32 v24, v22, v21
	s_wait_alu 0xf1ff
	v_cndmask_b32_e64 v0, 0, 1, s0
	v_cmp_gt_i32_e64 s0, 31, v16
	s_delay_alu instid0(VALU_DEP_3) | instskip(NEXT) | instid1(VALU_DEP_3)
	v_lshlrev_b32_e32 v17, v22, v24
	v_lshl_or_b32 v0, v0, 9, 0x7c00
	s_wait_alu 0xf1ff
	s_delay_alu instid0(VALU_DEP_3) | instskip(SKIP_4) | instid1(VALU_DEP_3)
	v_cndmask_b32_e64 v5, 0x7c00, v5, s0
	v_cmp_eq_u32_e64 s0, 0x40f, v16
	v_lshrrev_b32_e32 v23, 8, v15
	v_bfe_u32 v26, v15, 20, 11
	s_wait_alu 0xf1ff
	v_cndmask_b32_e64 v0, v5, v0, s0
	v_and_or_b32 v5, 0x1ff, v15, v14
	v_cmp_ne_u32_e64 s0, v17, v21
	v_add_nc_u32_e32 v21, 0xfffffc10, v27
	v_mul_f64_e32 v[16:17], s[10:11], v[18:19]
	v_sub_nc_u32_e32 v18, 0x3f1, v26
	v_and_or_b32 v0, 0x8000, v6, v0
	s_wait_alu 0xf1ff
	v_cndmask_b32_e64 v14, 0, 1, s0
	v_cmp_ne_u32_e64 s0, 0, v5
	v_cvt_f64_f32_e32 v[4:5], v4
	v_med3_i32 v18, v18, 0, 13
	v_and_b32_e32 v6, 0xffff, v20
	v_or_b32_e32 v14, v24, v14
	s_wait_alu 0xf1ff
	v_cndmask_b32_e64 v22, 0, 1, s0
	v_lshl_or_b32 v24, v21, 12, v12
	v_cmp_gt_i32_e64 s0, 1, v21
	v_lshl_or_b32 v0, v0, 16, v6
	s_delay_alu instid0(VALU_DEP_4) | instskip(SKIP_1) | instid1(VALU_DEP_3)
	v_and_or_b32 v22, 0xffe, v23, v22
	s_wait_alu 0xf1ff
	v_cndmask_b32_e64 v14, v24, v14, s0
	v_add_co_u32 v10, s0, v10, s6
	s_delay_alu instid0(VALU_DEP_3)
	v_or_b32_e32 v19, 0x1000, v22
	s_wait_alu 0xf1ff
	v_add_co_ci_u32_e64 v11, s0, s7, v11, s0
	v_and_b32_e32 v20, 7, v14
	v_lshrrev_b32_e32 v6, 2, v14
	v_lshrrev_b32_e32 v23, v18, v19
	v_add_nc_u32_e32 v24, 0xfffffc10, v26
	s_delay_alu instid0(VALU_DEP_4) | instskip(SKIP_1) | instid1(VALU_DEP_4)
	v_cmp_lt_i32_e64 s0, 5, v20
	v_cmp_eq_u32_e64 s1, 3, v20
	v_lshlrev_b32_e32 v18, v18, v23
	v_lshrrev_b32_e32 v20, 16, v3
	s_delay_alu instid0(VALU_DEP_3) | instskip(NEXT) | instid1(VALU_DEP_2)
	s_or_b32 s0, s1, s0
	v_cmp_ne_u32_e64 s2, v18, v19
	s_wait_alu 0xfffe
	v_add_co_ci_u32_e64 v6, s0, 0, v6, s0
	v_mul_f16_e32 v18, v28, v20
	v_cmp_gt_i32_e64 s0, 31, v21
	s_wait_alu 0xf1ff
	v_cndmask_b32_e64 v14, 0, 1, s2
	v_lshl_or_b32 v19, v24, 12, v22
	v_and_or_b32 v16, 0x1ff, v17, v16
	v_fmac_f16_e64 v18, v142, v3
	v_cndmask_b32_e64 v6, 0x7c00, v6, s0
	v_or_b32_e32 v14, v23, v14
	v_cmp_gt_i32_e64 s0, 1, v24
	v_mul_f64_e32 v[4:5], s[10:11], v[4:5]
	v_cvt_f32_f16_e32 v18, v18
	v_cmp_eq_u32_e64 s2, 0x40f, v21
	v_lshrrev_b32_e32 v26, 8, v17
	s_wait_alu 0xf1ff
	v_cndmask_b32_e64 v14, v19, v14, s0
	v_cmp_ne_u32_e64 s0, 0, v12
	v_cvt_f64_f32_e32 v[18:19], v18
	v_bfe_u32 v27, v17, 20, 11
	v_mul_f16_e32 v3, v28, v3
	v_and_b32_e32 v23, 7, v14
	s_wait_alu 0xf1ff
	v_cndmask_b32_e64 v12, 0, 1, s0
	v_cmp_ne_u32_e64 s0, 0, v16
	v_lshrrev_b32_e32 v28, 16, v135
	v_fma_f16 v3, v142, v20, -v3
	v_cmp_eq_u32_e64 s1, 3, v23
	v_lshl_or_b32 v12, v12, 9, 0x7c00
	s_wait_alu 0xf1ff
	v_cndmask_b32_e64 v16, 0, 1, s0
	v_cmp_lt_i32_e64 s0, 5, v23
	v_sub_nc_u32_e32 v23, 0x3f1, v27
	v_add_nc_u32_e32 v20, 0xfffffc10, v27
	v_cndmask_b32_e64 v6, v6, v12, s2
	v_lshrrev_b32_e32 v12, 2, v14
	v_and_or_b32 v16, 0xffe, v26, v16
	s_or_b32 s0, s1, s0
	v_med3_i32 v21, v23, 0, 13
	v_and_or_b32 v6, 0x8000, v13, v6
	s_wait_alu 0xfffe
	v_add_co_ci_u32_e64 v12, s0, 0, v12, s0
	v_or_b32_e32 v14, 0x1000, v16
	v_cmp_ne_u32_e64 s0, 0, v22
	v_and_b32_e32 v6, 0xffff, v6
	s_delay_alu instid0(VALU_DEP_3) | instskip(SKIP_1) | instid1(VALU_DEP_3)
	v_lshrrev_b32_e32 v23, v21, v14
	s_wait_alu 0xf1ff
	v_cndmask_b32_e64 v22, 0, 1, s0
	v_cmp_gt_i32_e64 s0, 31, v24
	s_delay_alu instid0(VALU_DEP_3) | instskip(NEXT) | instid1(VALU_DEP_3)
	v_lshlrev_b32_e32 v13, v21, v23
	v_lshl_or_b32 v22, v22, 9, 0x7c00
	s_wait_alu 0xf1ff
	s_delay_alu instid0(VALU_DEP_3) | instskip(SKIP_4) | instid1(VALU_DEP_3)
	v_cndmask_b32_e64 v12, 0x7c00, v12, s0
	v_cmp_eq_u32_e64 s0, 0x40f, v24
	v_and_or_b32 v4, 0x1ff, v5, v4
	v_bfe_u32 v24, v5, 20, 11
	s_wait_alu 0xf1ff
	v_cndmask_b32_e64 v21, v12, v22, s0
	v_cmp_ne_u32_e64 s0, v13, v14
	v_cvt_f32_f16_e32 v13, v3
	v_lshrrev_b32_e32 v22, 8, v5
	s_wait_alu 0xf1ff
	s_delay_alu instid0(VALU_DEP_3) | instskip(SKIP_3) | instid1(VALU_DEP_4)
	v_cndmask_b32_e64 v12, 0, 1, s0
	v_cmp_ne_u32_e64 s0, 0, v4
	v_mul_f64_e32 v[3:4], s[10:11], v[18:19]
	v_lshl_or_b32 v19, v20, 12, v16
	v_or_b32_e32 v18, v23, v12
	s_wait_alu 0xf1ff
	v_cndmask_b32_e64 v14, 0, 1, s0
	v_cvt_f64_f32_e32 v[12:13], v13
	v_cmp_gt_i32_e64 s0, 1, v20
	v_lshrrev_b32_e32 v23, 16, v15
	s_delay_alu instid0(VALU_DEP_4)
	v_and_or_b32 v22, 0xffe, v22, v14
	v_sub_nc_u32_e32 v14, 0x3f1, v24
	s_wait_alu 0xf1ff
	v_cndmask_b32_e64 v18, v19, v18, s0
	v_and_or_b32 v21, 0x8000, v23, v21
	v_or_b32_e32 v19, 0x1000, v22
	v_med3_i32 v26, v14, 0, 13
	v_add_co_u32 v14, s0, v10, s6
	s_wait_alu 0xf1ff
	v_add_co_ci_u32_e64 v15, s0, s7, v11, s0
	s_delay_alu instid0(VALU_DEP_3)
	v_lshrrev_b32_e32 v23, v26, v19
	v_and_b32_e32 v27, 7, v18
	s_clause 0x1
	global_store_b32 v[10:11], v25, off
	global_store_b32 v[14:15], v0, off
	v_lshl_or_b32 v21, v21, 16, v6
	v_lshrrev_b32_e32 v6, 2, v18
	v_lshlrev_b32_e32 v0, v26, v23
	v_cmp_lt_i32_e64 s0, 5, v27
	v_cmp_eq_u32_e64 s1, 3, v27
	v_add_nc_u32_e32 v18, 0xfffffc10, v24
	v_lshrrev_b32_e32 v26, 16, v139
	v_cmp_ne_u32_e64 s2, v0, v19
	v_lshrrev_b32_e32 v19, 16, v2
	s_or_b32 s0, s1, s0
	v_lshl_or_b32 v10, v18, 12, v22
	s_wait_alu 0xfffe
	v_add_co_ci_u32_e64 v6, s0, 0, v6, s0
	v_cndmask_b32_e64 v0, 0, 1, s2
	v_cmp_gt_i32_e64 s0, 31, v20
	v_and_or_b32 v3, 0x1ff, v4, v3
	v_bfe_u32 v24, v4, 20, 11
	v_cmp_eq_u32_e64 s2, 0x40f, v20
	v_or_b32_e32 v0, v23, v0
	s_wait_alu 0xf1ff
	v_cndmask_b32_e64 v6, 0x7c00, v6, s0
	v_cmp_gt_i32_e64 s0, 1, v18
	v_mul_f16_e32 v23, v26, v19
	s_wait_alu 0xf1ff
	s_delay_alu instid0(VALU_DEP_2)
	v_cndmask_b32_e64 v0, v10, v0, s0
	v_cmp_ne_u32_e64 s0, 0, v3
	v_mul_f64_e32 v[10:11], s[10:11], v[12:13]
	v_fmac_f16_e64 v23, v139, v2
	v_lshrrev_b32_e32 v12, 8, v4
	v_mul_f16_e32 v2, v26, v2
	s_wait_alu 0xf1ff
	v_cndmask_b32_e64 v3, 0, 1, s0
	v_cmp_ne_u32_e64 s0, 0, v16
	v_cvt_f32_f16_e32 v13, v23
	v_and_b32_e32 v23, 7, v0
	v_lshrrev_b32_e32 v0, 2, v0
	v_and_or_b32 v25, 0xffe, v12, v3
	s_wait_alu 0xf1ff
	v_cndmask_b32_e64 v16, 0, 1, s0
	v_sub_nc_u32_e32 v3, 0x3f1, v24
	v_cmp_lt_i32_e64 s0, 5, v23
	v_cmp_eq_u32_e64 s1, 3, v23
	v_cvt_f64_f32_e32 v[12:13], v13
	v_lshl_or_b32 v16, v16, 9, 0x7c00
	v_or_b32_e32 v23, 0x1000, v25
	v_med3_i32 v3, v3, 0, 13
	s_or_b32 s0, s1, s0
	v_fma_f16 v2, v139, v19, -v2
	s_wait_alu 0xfffe
	v_add_co_ci_u32_e64 v0, s0, 0, v0, s0
	v_cndmask_b32_e64 v6, v6, v16, s2
	v_lshrrev_b32_e32 v16, 16, v17
	v_lshrrev_b32_e32 v17, v3, v23
	v_cmp_ne_u32_e64 s0, 0, v22
	v_cvt_f32_f16_e32 v2, v2
	s_movk_i32 s2, 0xe0f0
	v_and_or_b32 v16, 0x8000, v16, v6
	v_lshlrev_b32_e32 v3, v3, v17
	s_wait_alu 0xf1ff
	v_cndmask_b32_e64 v20, 0, 1, s0
	v_cmp_gt_i32_e64 s0, 31, v18
	s_mov_b32 s3, -1
	v_and_b32_e32 v16, 0xffff, v16
	s_wait_alu 0xfffe
	s_mul_u64 s[4:5], s[4:5], s[2:3]
	v_lshl_or_b32 v6, v20, 9, 0x7c00
	v_cndmask_b32_e64 v0, 0x7c00, v0, s0
	v_cmp_ne_u32_e64 s0, v3, v23
	v_lshrrev_b32_e32 v20, 8, v11
	v_bfe_u32 v22, v11, 20, 11
	v_lshrrev_b32_e32 v26, 16, v141
	v_lshrrev_b32_e32 v4, 16, v4
	s_wait_alu 0xf1ff
	v_cndmask_b32_e64 v3, 0, 1, s0
	v_cmp_eq_u32_e64 s0, 0x40f, v18
	v_add_nc_u32_e32 v18, 0xfffffc10, v24
	s_wait_alu 0xfffe
	s_lshl_b64 s[4:5], s[4:5], 2
	v_or_b32_e32 v17, v17, v3
	v_cndmask_b32_e64 v0, v0, v6, s0
	v_and_or_b32 v6, 0x1ff, v11, v10
	v_cvt_f64_f32_e32 v[2:3], v2
	v_lshrrev_b32_e32 v10, 16, v5
	v_lshl_or_b32 v23, v18, 12, v25
	s_delay_alu instid0(VALU_DEP_4)
	v_cmp_ne_u32_e64 s0, 0, v6
	v_mul_f64_e32 v[5:6], s[10:11], v[12:13]
	v_sub_nc_u32_e32 v12, 0x3f1, v22
	v_and_or_b32 v0, 0x8000, v10, v0
	s_wait_alu 0xf1ff
	v_cndmask_b32_e64 v19, 0, 1, s0
	v_cmp_gt_i32_e64 s0, 1, v18
	s_delay_alu instid0(VALU_DEP_3) | instskip(SKIP_1) | instid1(VALU_DEP_4)
	v_lshl_or_b32 v0, v0, 16, v16
	v_add_nc_u32_e32 v16, 0xfffffc10, v22
	v_and_or_b32 v19, 0xffe, v20, v19
	s_wait_alu 0xf1ff
	v_cndmask_b32_e64 v10, v23, v17, s0
	v_med3_i32 v20, v12, 0, 13
	v_add_co_u32 v12, s0, v14, s6
	v_or_b32_e32 v17, 0x1000, v19
	s_delay_alu instid0(VALU_DEP_4)
	v_and_b32_e32 v23, 7, v10
	s_wait_alu 0xf1ff
	v_add_co_ci_u32_e64 v13, s0, s7, v15, s0
	v_lshrrev_b32_e32 v10, 2, v10
	v_lshrrev_b32_e32 v24, v20, v17
	v_cmp_lt_i32_e64 s0, 5, v23
	v_cmp_eq_u32_e64 s1, 3, v23
	v_lshl_or_b32 v15, v16, 12, v19
	s_delay_alu instid0(VALU_DEP_4) | instskip(NEXT) | instid1(VALU_DEP_3)
	v_lshlrev_b32_e32 v14, v20, v24
	s_or_b32 s0, s1, s0
	s_wait_alu 0xfffe
	v_add_co_ci_u32_e64 v10, s0, 0, v10, s0
	s_delay_alu instid0(VALU_DEP_2)
	v_cmp_ne_u32_e64 s2, v14, v17
	v_cmp_ne_u32_e64 s0, 0, v25
	v_lshrrev_b32_e32 v17, 16, v1
	v_mul_f64_e32 v[2:3], s[10:11], v[2:3]
	s_wait_alu 0xf1ff
	v_cndmask_b32_e64 v14, 0, 1, s2
	v_cndmask_b32_e64 v20, 0, 1, s0
	v_cmp_gt_i32_e64 s0, 1, v16
	v_and_or_b32 v5, 0x1ff, v6, v5
	v_lshrrev_b32_e32 v23, 8, v6
	v_or_b32_e32 v14, v24, v14
	v_bfe_u32 v24, v6, 20, 11
	v_cmp_eq_u32_e64 s2, 0x40f, v18
	v_lshl_or_b32 v20, v20, 9, 0x7c00
	v_lshrrev_b32_e32 v6, 16, v6
	s_wait_alu 0xf1ff
	v_cndmask_b32_e64 v22, v15, v14, s0
	v_mul_f16_e32 v14, v26, v17
	v_cmp_gt_i32_e64 s0, 31, v18
	s_delay_alu instid0(VALU_DEP_3) | instskip(NEXT) | instid1(VALU_DEP_3)
	v_and_b32_e32 v15, 7, v22
	v_fmac_f16_e64 v14, v141, v1
	s_wait_alu 0xf1ff
	s_delay_alu instid0(VALU_DEP_3)
	v_cndmask_b32_e64 v10, 0x7c00, v10, s0
	v_cmp_ne_u32_e64 s0, 0, v5
	v_lshrrev_b32_e32 v18, 2, v22
	v_cmp_eq_u32_e64 s1, 3, v15
	v_cvt_f32_f16_e32 v14, v14
	v_cndmask_b32_e64 v10, v10, v20, s2
	s_wait_alu 0xf1ff
	v_cndmask_b32_e64 v5, 0, 1, s0
	v_cmp_lt_i32_e64 s0, 5, v15
	v_mul_f16_e32 v1, v26, v1
	v_cvt_f64_f32_e32 v[14:15], v14
	v_and_or_b32 v25, 0x8000, v4, v10
	v_and_or_b32 v23, 0xffe, v23, v5
	v_sub_nc_u32_e32 v5, 0x3f1, v24
	s_or_b32 s0, s1, s0
	v_fma_f16 v1, v141, v17, -v1
	s_wait_alu 0xfffe
	v_add_co_ci_u32_e64 v18, s0, 0, v18, s0
	v_or_b32_e32 v20, 0x1000, v23
	v_med3_i32 v5, v5, 0, 13
	v_cmp_ne_u32_e64 s0, 0, v19
	v_and_or_b32 v2, 0x1ff, v3, v2
	v_cvt_f32_f16_e32 v1, v1
	v_bfe_u32 v17, v3, 20, 11
	v_lshrrev_b32_e32 v22, v5, v20
	s_wait_alu 0xf1ff
	v_cndmask_b32_e64 v19, 0, 1, s0
	v_cmp_gt_i32_e64 s0, 31, v16
	v_and_b32_e32 v25, 0xffff, v25
	v_lshlrev_b32_e32 v4, v5, v22
	s_delay_alu instid0(VALU_DEP_4)
	v_lshl_or_b32 v19, v19, 9, 0x7c00
	s_wait_alu 0xf1ff
	v_cndmask_b32_e64 v18, 0x7c00, v18, s0
	v_cmp_eq_u32_e64 s0, 0x40f, v16
	v_lshrrev_b32_e32 v5, 8, v3
	s_wait_alu 0xf1ff
	s_delay_alu instid0(VALU_DEP_2) | instskip(SKIP_4) | instid1(VALU_DEP_3)
	v_cndmask_b32_e64 v16, v18, v19, s0
	v_cmp_ne_u32_e64 s0, v4, v20
	v_add_nc_u32_e32 v19, 0xfffffc10, v24
	v_lshrrev_b32_e32 v18, 16, v11
	s_wait_alu 0xf1ff
	v_cndmask_b32_e64 v4, 0, 1, s0
	v_cmp_ne_u32_e64 s0, 0, v2
	v_lshl_or_b32 v11, v19, 12, v23
	v_and_or_b32 v16, 0x8000, v18, v16
	s_delay_alu instid0(VALU_DEP_4) | instskip(SKIP_4) | instid1(VALU_DEP_3)
	v_or_b32_e32 v10, v22, v4
	s_wait_alu 0xf1ff
	v_cndmask_b32_e64 v2, 0, 1, s0
	v_cmp_gt_i32_e64 s0, 1, v19
	v_lshl_or_b32 v16, v16, 16, v25
	v_and_or_b32 v20, 0xffe, v5, v2
	s_wait_alu 0xf1ff
	s_delay_alu instid0(VALU_DEP_3)
	v_cndmask_b32_e64 v22, v11, v10, s0
	v_cvt_f64_f32_e32 v[10:11], v1
	v_mul_f64_e32 v[4:5], s[10:11], v[14:15]
	ds_load_2addr_stride64_b32 v[1:2], v107 offset0:14 offset1:21
	v_sub_nc_u32_e32 v14, 0x3f1, v17
	v_or_b32_e32 v24, 0x1000, v20
	v_and_b32_e32 v27, 7, v22
	v_add_nc_u32_e32 v17, 0xfffffc10, v17
	s_delay_alu instid0(VALU_DEP_4) | instskip(SKIP_3) | instid1(VALU_DEP_3)
	v_med3_i32 v26, v14, 0, 13
	v_add_co_u32 v14, s0, v12, s4
	s_wait_alu 0xf1ff
	v_add_co_ci_u32_e64 v15, s0, s5, v13, s0
	v_lshrrev_b32_e32 v18, v26, v24
	s_clause 0x1
	global_store_b32 v[12:13], v21, off
	global_store_b32 v[14:15], v0, off
	v_cmp_lt_i32_e64 s0, 5, v27
	v_cmp_eq_u32_e64 s1, 3, v27
	v_lshlrev_b32_e32 v0, v26, v18
	v_lshrrev_b32_e32 v26, 16, v137
	v_lshrrev_b32_e32 v12, 2, v22
	s_wait_dscnt 0x0
	v_lshrrev_b32_e32 v21, 16, v1
	v_cmp_ne_u32_e64 s2, v0, v24
	s_or_b32 s0, s1, s0
	s_wait_alu 0xfffe
	v_add_co_ci_u32_e64 v12, s0, 0, v12, s0
	v_mul_f16_e32 v13, v26, v21
	v_cndmask_b32_e64 v0, 0, 1, s2
	v_cmp_gt_i32_e64 s0, 31, v19
	v_cmp_eq_u32_e64 s2, 0x40f, v19
	s_delay_alu instid0(VALU_DEP_4) | instskip(NEXT) | instid1(VALU_DEP_4)
	v_fmac_f16_e64 v13, v137, v1
	v_or_b32_e32 v0, v18, v0
	v_lshl_or_b32 v18, v17, 12, v20
	s_wait_alu 0xf1ff
	v_cndmask_b32_e64 v22, 0x7c00, v12, s0
	v_cmp_gt_i32_e64 s0, 1, v17
	v_cvt_f32_f16_e32 v12, v13
	v_mul_f64_e32 v[10:11], s[10:11], v[10:11]
	v_and_or_b32 v4, 0x1ff, v5, v4
	v_lshrrev_b32_e32 v24, 8, v5
	s_wait_alu 0xf1ff
	v_cndmask_b32_e64 v0, v18, v0, s0
	v_cmp_ne_u32_e64 s0, 0, v23
	v_cvt_f64_f32_e32 v[12:13], v12
	v_bfe_u32 v25, v5, 20, 11
	v_mul_f16_e32 v1, v26, v1
	v_and_b32_e32 v23, 7, v0
	s_wait_alu 0xf1ff
	v_cndmask_b32_e64 v18, 0, 1, s0
	v_cmp_ne_u32_e64 s0, 0, v4
	v_lshrrev_b32_e32 v0, 2, v0
	v_fma_f16 v1, v137, v21, -v1
	v_cmp_eq_u32_e64 s1, 3, v23
	v_lshl_or_b32 v18, v18, 9, 0x7c00
	s_wait_alu 0xf1ff
	v_cndmask_b32_e64 v4, 0, 1, s0
	v_cmp_lt_i32_e64 s0, 5, v23
	v_cvt_f32_f16_e32 v1, v1
	v_cndmask_b32_e64 v18, v22, v18, s2
	s_delay_alu instid0(VALU_DEP_4) | instskip(NEXT) | instid1(VALU_DEP_4)
	v_and_or_b32 v23, 0xffe, v24, v4
	s_or_b32 s0, s1, s0
	v_sub_nc_u32_e32 v4, 0x3f1, v25
	s_wait_alu 0xfffe
	v_add_co_ci_u32_e64 v0, s0, 0, v0, s0
	v_cmp_ne_u32_e64 s0, 0, v20
	v_or_b32_e32 v19, 0x1000, v23
	v_med3_i32 v4, v4, 0, 13
	v_and_or_b32 v6, 0x8000, v6, v18
	v_lshrrev_b32_e32 v18, 16, v3
	s_wait_alu 0xf1ff
	v_cndmask_b32_e64 v20, 0, 1, s0
	v_cmp_gt_i32_e64 s0, 31, v17
	v_lshrrev_b32_e32 v22, v4, v19
	v_and_b32_e32 v6, 0xffff, v6
	s_delay_alu instid0(VALU_DEP_4)
	v_lshl_or_b32 v20, v20, 9, 0x7c00
	s_wait_alu 0xf1ff
	v_cndmask_b32_e64 v0, 0x7c00, v0, s0
	v_add_co_u32 v14, s0, v14, s6
	s_wait_alu 0xf1ff
	v_add_co_ci_u32_e64 v15, s0, s7, v15, s0
	v_lshlrev_b32_e32 v4, v4, v22
	v_cmp_eq_u32_e64 s0, 0x40f, v17
	v_and_or_b32 v3, 0x1ff, v11, v10
	v_mul_f64_e32 v[12:13], s[10:11], v[12:13]
	v_bfe_u32 v21, v11, 20, 11
	global_store_b32 v[14:15], v16, off
	s_wait_alu 0xf1ff
	v_cndmask_b32_e64 v17, v0, v20, s0
	v_cmp_ne_u32_e64 s0, v4, v19
	v_add_nc_u32_e32 v19, 0xfffffc10, v25
	v_lshrrev_b32_e32 v20, 8, v11
	v_add_co_u32 v14, s2, v14, s6
	s_wait_alu 0xf1ff
	v_cndmask_b32_e64 v0, 0, 1, s0
	v_cmp_ne_u32_e64 s0, 0, v3
	v_lshl_or_b32 v4, v19, 12, v23
	v_and_or_b32 v17, 0x8000, v18, v17
	v_add_co_ci_u32_e64 v15, s2, s7, v15, s2
	v_or_b32_e32 v0, v22, v0
	s_wait_alu 0xf1ff
	v_cndmask_b32_e64 v10, 0, 1, s0
	v_cmp_gt_i32_e64 s0, 1, v19
	v_lshl_or_b32 v6, v17, 16, v6
	v_lshrrev_b32_e32 v11, 16, v11
	s_delay_alu instid0(VALU_DEP_4)
	v_and_or_b32 v10, 0xffe, v20, v10
	s_wait_alu 0xf1ff
	v_cndmask_b32_e64 v22, v4, v0, s0
	v_cvt_f64_f32_e32 v[0:1], v1
	v_sub_nc_u32_e32 v20, 0x3f1, v21
	ds_load_2addr_stride64_b32 v[3:4], v9 offset0:57 offset1:64
	v_or_b32_e32 v24, 0x1000, v10
	v_and_b32_e32 v18, 7, v22
	v_lshrrev_b32_e32 v17, 2, v22
	v_med3_i32 v20, v20, 0, 13
	v_add_nc_u32_e32 v21, 0xfffffc10, v21
	global_store_b32 v[14:15], v6, off
	v_cmp_lt_i32_e64 s0, 5, v18
	v_cmp_eq_u32_e64 s1, 3, v18
	v_lshrrev_b32_e32 v16, v20, v24
	v_lshl_or_b32 v25, v21, 12, v10
	s_delay_alu instid0(VALU_DEP_3) | instskip(NEXT) | instid1(VALU_DEP_2)
	s_or_b32 s0, s1, s0
	v_lshlrev_b32_e32 v18, v20, v16
	s_wait_alu 0xfffe
	v_add_co_ci_u32_e64 v22, s0, 0, v17, s0
	v_and_or_b32 v12, 0x1ff, v13, v12
	v_lshrrev_b32_e32 v26, 8, v13
	v_cmp_ne_u32_e64 s0, v18, v24
	s_wait_dscnt 0x0
	v_lshrrev_b32_e32 v20, 16, v3
	v_bfe_u32 v27, v13, 20, 11
	v_lshrrev_b32_e32 v13, 16, v13
	s_wait_alu 0xf1ff
	v_cndmask_b32_e64 v17, 0, 1, s0
	v_cmp_ne_u32_e64 s0, 0, v23
	v_mul_f16_e32 v18, v28, v20
	s_delay_alu instid0(VALU_DEP_3) | instskip(SKIP_1) | instid1(VALU_DEP_3)
	v_or_b32_e32 v24, v16, v17
	s_wait_alu 0xf1ff
	v_cndmask_b32_e64 v23, 0, 1, s0
	v_cmp_ne_u32_e64 s0, 0, v12
	v_fmac_f16_e64 v18, v135, v3
	v_mul_f16_e32 v3, v28, v3
	v_lshrrev_b32_e32 v28, 16, v131
	v_lshl_or_b32 v23, v23, 9, 0x7c00
	s_wait_alu 0xf1ff
	v_cndmask_b32_e64 v12, 0, 1, s0
	v_mul_f64_e32 v[16:17], s[10:11], v[0:1]
	v_cmp_gt_i32_e64 s0, 1, v21
	v_cvt_f32_f16_e32 v18, v18
	v_fma_f16 v3, v135, v20, -v3
	v_and_or_b32 v12, 0xffe, v26, v12
	v_add_nc_u32_e32 v20, 0xfffffc10, v27
	s_wait_alu 0xf1ff
	v_cndmask_b32_e64 v24, v25, v24, s0
	v_cmp_gt_i32_e64 s0, 31, v19
	v_cvt_f64_f32_e32 v[0:1], v18
	v_sub_nc_u32_e32 v18, 0x3f1, v27
	v_or_b32_e32 v26, 0x1000, v12
	v_and_b32_e32 v25, 7, v24
	s_wait_alu 0xf1ff
	v_cndmask_b32_e64 v22, 0x7c00, v22, s0
	v_cmp_eq_u32_e64 s0, 0x40f, v19
	v_med3_i32 v18, v18, 0, 13
	v_cvt_f32_f16_e32 v3, v3
	v_cmp_eq_u32_e64 s1, 3, v25
	v_lshl_or_b32 v19, v20, 12, v12
	s_wait_alu 0xf1ff
	v_cndmask_b32_e64 v22, v22, v23, s0
	v_cmp_lt_i32_e64 s0, 5, v25
	v_lshrrev_b32_e32 v23, 16, v5
	v_lshrrev_b32_e32 v5, 2, v24
	;; [unrolled: 1-line block ×3, first 2 shown]
	s_delay_alu instid0(VALU_DEP_4) | instskip(NEXT) | instid1(VALU_DEP_3)
	s_or_b32 s0, s1, s0
	v_and_or_b32 v22, 0x8000, v23, v22
	s_wait_alu 0xfffe
	v_add_co_ci_u32_e64 v5, s0, 0, v5, s0
	v_lshlrev_b32_e32 v18, v18, v6
	v_cmp_ne_u32_e64 s0, 0, v10
	v_and_b32_e32 v22, 0xffff, v22
	s_wait_alu 0xf1ff
	s_delay_alu instid0(VALU_DEP_2) | instskip(SKIP_2) | instid1(VALU_DEP_3)
	v_cndmask_b32_e64 v10, 0, 1, s0
	v_cmp_ne_u32_e64 s0, v18, v26
	v_lshrrev_b32_e32 v25, 8, v17
	v_lshl_or_b32 v10, v10, 9, 0x7c00
	s_wait_alu 0xf1ff
	s_delay_alu instid0(VALU_DEP_3) | instskip(SKIP_2) | instid1(VALU_DEP_3)
	v_cndmask_b32_e64 v18, 0, 1, s0
	v_cmp_gt_i32_e64 s0, 31, v21
	v_bfe_u32 v26, v17, 20, 11
	v_or_b32_e32 v18, v6, v18
	s_wait_alu 0xf1ff
	s_delay_alu instid0(VALU_DEP_3)
	v_cndmask_b32_e64 v24, 0x7c00, v5, s0
	v_cvt_f64_f32_e32 v[5:6], v3
	v_and_or_b32 v3, 0x1ff, v17, v16
	v_cmp_gt_i32_e64 s0, 1, v20
	v_lshrrev_b32_e32 v17, 16, v17
	s_wait_alu 0xf1ff
	s_delay_alu instid0(VALU_DEP_2)
	v_cndmask_b32_e64 v16, v19, v18, s0
	v_cmp_ne_u32_e64 s0, 0, v3
	v_mul_f64_e32 v[18:19], s[10:11], v[0:1]
	ds_load_2addr_stride64_b32 v[0:1], v7 offset0:101 offset1:108
	s_wait_alu 0xf1ff
	v_cndmask_b32_e64 v3, 0, 1, s0
	v_cmp_eq_u32_e64 s0, 0x40f, v21
	v_sub_nc_u32_e32 v21, 0x3f1, v26
	v_add_nc_u32_e32 v26, 0xfffffc10, v26
	s_delay_alu instid0(VALU_DEP_4)
	v_and_or_b32 v3, 0xffe, v25, v3
	s_wait_alu 0xf1ff
	v_cndmask_b32_e64 v10, v24, v10, s0
	v_and_b32_e32 v24, 7, v16
	v_med3_i32 v21, v21, 0, 13
	v_lshrrev_b32_e32 v16, 2, v16
	s_delay_alu instid0(VALU_DEP_4) | instskip(SKIP_3) | instid1(VALU_DEP_4)
	v_and_or_b32 v10, 0x8000, v11, v10
	v_or_b32_e32 v11, 0x1000, v3
	v_cmp_lt_i32_e64 s0, 5, v24
	v_cmp_eq_u32_e64 s1, 3, v24
	v_lshl_or_b32 v22, v10, 16, v22
	s_delay_alu instid0(VALU_DEP_4)
	v_lshrrev_b32_e32 v23, v21, v11
	s_wait_dscnt 0x0
	v_lshrrev_b32_e32 v24, 16, v0
	s_or_b32 s0, s1, s0
	s_wait_alu 0xfffe
	v_add_co_ci_u32_e64 v16, s0, 0, v16, s0
	v_lshlrev_b32_e32 v21, v21, v23
	v_cmp_gt_i32_e64 s0, 31, v20
	v_mul_f16_e32 v25, v28, v24
	s_wait_alu 0xf1ff
	s_delay_alu instid0(VALU_DEP_2) | instskip(SKIP_1) | instid1(VALU_DEP_3)
	v_cndmask_b32_e64 v16, 0x7c00, v16, s0
	v_cmp_ne_u32_e64 s0, v21, v11
	v_fmac_f16_e64 v25, v131, v0
	v_mul_f64_e32 v[10:11], s[10:11], v[5:6]
	v_mul_f16_e32 v0, v28, v0
	v_and_or_b32 v18, 0x1ff, v19, v18
	s_wait_alu 0xf1ff
	v_cndmask_b32_e64 v21, 0, 1, s0
	v_cmp_ne_u32_e64 s0, 0, v12
	v_cvt_f32_f16_e32 v6, v25
	v_bfe_u32 v25, v19, 20, 11
	v_fma_f16 v0, v131, v24, -v0
	v_or_b32_e32 v12, v23, v21
	s_wait_alu 0xf1ff
	v_cndmask_b32_e64 v5, 0, 1, s0
	v_lshl_or_b32 v21, v26, 12, v3
	v_cmp_gt_i32_e64 s0, 1, v26
	v_cvt_f32_f16_e32 v0, v0
	s_delay_alu instid0(VALU_DEP_4)
	v_lshl_or_b32 v23, v5, 9, 0x7c00
	v_cvt_f64_f32_e32 v[5:6], v6
	s_wait_alu 0xf1ff
	v_cndmask_b32_e64 v12, v21, v12, s0
	v_cmp_ne_u32_e64 s0, 0, v18
	v_lshrrev_b32_e32 v21, 8, v19
	v_lshrrev_b32_e32 v19, 16, v19
	s_delay_alu instid0(VALU_DEP_4)
	v_and_b32_e32 v27, 7, v12
	s_wait_alu 0xf1ff
	v_cndmask_b32_e64 v18, 0, 1, s0
	v_cmp_eq_u32_e64 s0, 0x40f, v20
	v_sub_nc_u32_e32 v20, 0x3f1, v25
	v_lshrrev_b32_e32 v12, 2, v12
	v_cmp_eq_u32_e64 s1, 3, v27
	v_and_or_b32 v18, 0xffe, v21, v18
	s_wait_alu 0xf1ff
	v_cndmask_b32_e64 v16, v16, v23, s0
	v_cmp_lt_i32_e64 s0, 5, v27
	v_med3_i32 v20, v20, 0, 13
	v_add_nc_u32_e32 v25, 0xfffffc10, v25
	v_or_b32_e32 v21, 0x1000, v18
	v_and_or_b32 v16, 0x8000, v13, v16
	s_or_b32 s0, s1, s0
	s_wait_alu 0xfffe
	v_add_co_ci_u32_e64 v12, s0, 0, v12, s0
	v_lshrrev_b32_e32 v23, v20, v21
	v_cmp_gt_i32_e64 s0, 31, v26
	v_and_or_b32 v10, 0x1ff, v11, v10
	v_lshrrev_b32_e32 v28, 8, v11
	s_wait_alu 0xf1ff
	s_delay_alu instid0(VALU_DEP_3) | instskip(SKIP_3) | instid1(VALU_DEP_1)
	v_cndmask_b32_e64 v27, 0x7c00, v12, s0
	v_lshlrev_b32_e32 v12, v20, v23
	v_cmp_ne_u32_e64 s0, 0, v3
	s_wait_alu 0xf1ff
	v_cndmask_b32_e64 v3, 0, 1, s0
	s_delay_alu instid0(VALU_DEP_3)
	v_cmp_ne_u32_e64 s0, v12, v21
	v_mul_f64_e32 v[12:13], s[10:11], v[5:6]
	v_cvt_f64_f32_e32 v[20:21], v0
	v_bfe_u32 v0, v11, 20, 11
	v_lshl_or_b32 v6, v25, 12, v18
	s_wait_alu 0xf1ff
	v_cndmask_b32_e64 v24, 0, 1, s0
	v_cmp_ne_u32_e64 s0, 0, v10
	v_lshl_or_b32 v3, v3, 9, 0x7c00
	s_delay_alu instid0(VALU_DEP_3) | instskip(SKIP_1) | instid1(VALU_DEP_3)
	v_or_b32_e32 v5, v23, v24
	s_wait_alu 0xf1ff
	v_cndmask_b32_e64 v10, 0, 1, s0
	v_cmp_gt_i32_e64 s0, 1, v25
	v_sub_nc_u32_e32 v23, 0x3f1, v0
	v_add_nc_u32_e32 v0, 0xfffffc10, v0
	s_delay_alu instid0(VALU_DEP_4)
	v_and_or_b32 v10, 0xffe, v28, v10
	s_wait_alu 0xf1ff
	v_cndmask_b32_e64 v24, v6, v5, s0
	ds_load_2addr_stride64_b32 v[5:6], v8 offset0:145 offset1:152
	v_med3_i32 v23, v23, 0, 13
	v_cmp_eq_u32_e64 s0, 0x40f, v26
	v_or_b32_e32 v28, 0x1000, v10
	v_and_b32_e32 v26, 7, v24
	v_lshl_or_b32 v29, v0, 12, v10
	s_wait_alu 0xf1ff
	v_cndmask_b32_e64 v3, v27, v3, s0
	v_lshrrev_b32_e32 v27, v23, v28
	v_add_co_u32 v14, s0, v14, s6
	s_wait_alu 0xf1ff
	v_add_co_ci_u32_e64 v15, s0, s7, v15, s0
	v_and_or_b32 v3, 0x8000, v17, v3
	v_lshlrev_b32_e32 v17, v23, v27
	v_cmp_lt_i32_e64 s0, 5, v26
	v_cmp_eq_u32_e64 s1, 3, v26
	v_and_b32_e32 v23, 0xffff, v16
	v_lshrrev_b32_e32 v16, 2, v24
	v_cmp_ne_u32_e64 s2, v17, v28
	s_wait_dscnt 0x0
	v_lshrrev_b32_e32 v24, 16, v5
	s_or_b32 s0, s1, s0
	v_and_or_b32 v12, 0x1ff, v13, v12
	s_wait_alu 0xfffe
	v_add_co_ci_u32_e64 v26, s0, 0, v16, s0
	v_cndmask_b32_e64 v17, 0, 1, s2
	v_mul_f16_e32 v28, v31, v24
	v_cmp_ne_u32_e64 s0, 0, v18
	v_lshl_or_b32 v3, v3, 16, v23
	s_delay_alu instid0(VALU_DEP_4)
	v_or_b32_e32 v27, v27, v17
	v_mul_f64_e32 v[16:17], s[10:11], v[20:21]
	v_fmac_f16_e64 v28, v133, v5
	s_wait_alu 0xf1ff
	v_cndmask_b32_e64 v18, 0, 1, s0
	v_cmp_gt_i32_e64 s0, 1, v0
	v_mul_f16_e32 v5, v31, v5
	v_cvt_f32_f16_e32 v20, v28
	v_lshrrev_b32_e32 v28, 8, v13
	s_wait_alu 0xf1ff
	v_cndmask_b32_e64 v27, v29, v27, s0
	v_cmp_ne_u32_e64 s0, 0, v12
	v_bfe_u32 v29, v13, 20, 11
	v_cvt_f64_f32_e32 v[20:21], v20
	v_lshl_or_b32 v18, v18, 9, 0x7c00
	v_and_b32_e32 v30, 7, v27
	s_wait_alu 0xf1ff
	v_cndmask_b32_e64 v12, 0, 1, s0
	v_cmp_gt_i32_e64 s0, 31, v25
	v_lshrrev_b32_e32 v23, 2, v27
	v_fma_f16 v5, v133, v24, -v5
	v_cmp_eq_u32_e64 s1, 3, v30
	v_and_or_b32 v12, 0xffe, v28, v12
	s_wait_alu 0xf1ff
	v_cndmask_b32_e64 v26, 0x7c00, v26, s0
	v_cmp_eq_u32_e64 s0, 0x40f, v25
	v_sub_nc_u32_e32 v28, 0x3f1, v29
	v_cvt_f32_f16_e32 v5, v5
	v_or_b32_e32 v25, 0x1000, v12
	v_lshrrev_b32_e32 v13, 16, v13
	s_wait_alu 0xf1ff
	v_cndmask_b32_e64 v18, v26, v18, s0
	v_cmp_lt_i32_e64 s0, 5, v30
	v_med3_i32 v26, v28, 0, 13
	s_delay_alu instid0(VALU_DEP_3) | instskip(NEXT) | instid1(VALU_DEP_3)
	v_and_or_b32 v27, 0x8000, v19, v18
	s_or_b32 s0, s1, s0
	s_delay_alu instid0(VALU_DEP_2) | instskip(SKIP_3) | instid1(VALU_DEP_3)
	v_lshrrev_b32_e32 v28, v26, v25
	s_wait_alu 0xfffe
	v_add_co_ci_u32_e64 v18, s0, 0, v23, s0
	v_cmp_ne_u32_e64 s0, 0, v10
	v_lshlrev_b32_e32 v19, v26, v28
	v_and_or_b32 v16, 0x1ff, v17, v16
	v_lshrrev_b32_e32 v26, 8, v17
	s_wait_alu 0xf1ff
	v_cndmask_b32_e64 v10, 0, 1, s0
	v_cmp_gt_i32_e64 s0, 31, v0
	s_delay_alu instid0(VALU_DEP_2) | instskip(SKIP_1) | instid1(VALU_DEP_2)
	v_lshl_or_b32 v10, v10, 9, 0x7c00
	s_wait_alu 0xf1ff
	v_cndmask_b32_e64 v23, 0x7c00, v18, s0
	v_cmp_ne_u32_e64 s0, v19, v25
	v_cvt_f64_f32_e32 v[18:19], v5
	v_bfe_u32 v5, v17, 20, 11
	v_mul_f64_e32 v[20:21], s[10:11], v[20:21]
	v_add_nc_u32_e32 v25, 0xfffffc10, v29
	s_wait_alu 0xf1ff
	v_cndmask_b32_e64 v24, 0, 1, s0
	v_cmp_ne_u32_e64 s0, 0, v16
	s_wait_alu 0xf1ff
	s_delay_alu instid0(VALU_DEP_1) | instskip(SKIP_1) | instid1(VALU_DEP_2)
	v_cndmask_b32_e64 v16, 0, 1, s0
	v_cmp_eq_u32_e64 s0, 0x40f, v0
	v_and_or_b32 v16, 0xffe, v26, v16
	s_wait_alu 0xf1ff
	s_delay_alu instid0(VALU_DEP_2)
	v_cndmask_b32_e64 v0, v23, v10, s0
	v_or_b32_e32 v10, v28, v24
	v_sub_nc_u32_e32 v24, 0x3f1, v5
	v_lshl_or_b32 v23, v25, 12, v12
	v_cmp_gt_i32_e64 s0, 1, v25
	v_lshrrev_b32_e32 v26, 16, v11
	v_or_b32_e32 v28, 0x1000, v16
	v_med3_i32 v24, v24, 0, 13
	v_add_nc_u32_e32 v5, 0xfffffc10, v5
	s_wait_alu 0xf1ff
	v_cndmask_b32_e64 v23, v23, v10, s0
	v_add_co_u32 v10, s0, v14, s4
	v_and_or_b32 v0, 0x8000, v26, v0
	v_and_b32_e32 v26, 0xffff, v27
	v_lshrrev_b32_e32 v27, v24, v28
	s_wait_alu 0xf1ff
	v_add_co_ci_u32_e64 v11, s0, s5, v15, s0
	v_and_b32_e32 v29, 7, v23
	global_store_b32 v[14:15], v22, off
	global_store_b32 v[10:11], v3, off
	v_lshlrev_b32_e32 v3, v24, v27
	v_lshrrev_b32_e32 v22, 16, v2
	v_cmp_lt_i32_e64 s0, 5, v29
	v_cmp_eq_u32_e64 s1, 3, v29
	v_lshrrev_b32_e32 v14, 2, v23
	v_cmp_ne_u32_e64 s2, v3, v28
	v_lshrrev_b32_e32 v28, 16, v129
	v_and_or_b32 v20, 0x1ff, v21, v20
	s_or_b32 s0, s1, s0
	v_lshl_or_b32 v0, v0, 16, v26
	s_wait_alu 0xfffe
	v_add_co_ci_u32_e64 v24, s0, 0, v14, s0
	v_mul_f16_e32 v23, v28, v22
	v_cndmask_b32_e64 v3, 0, 1, s2
	v_cmp_ne_u32_e64 s0, 0, v12
	v_mul_f64_e32 v[14:15], s[10:11], v[18:19]
	v_lshl_or_b32 v18, v5, 12, v16
	v_fmac_f16_e64 v23, v129, v2
	v_or_b32_e32 v3, v27, v3
	s_wait_alu 0xf1ff
	v_cndmask_b32_e64 v12, 0, 1, s0
	v_cmp_gt_i32_e64 s0, 1, v5
	v_bfe_u32 v26, v21, 20, 11
	v_cvt_f32_f16_e32 v19, v23
	v_lshrrev_b32_e32 v23, 8, v21
	v_lshl_or_b32 v12, v12, 9, 0x7c00
	s_wait_alu 0xf1ff
	v_cndmask_b32_e64 v3, v18, v3, s0
	v_cmp_ne_u32_e64 s0, 0, v20
	v_cvt_f64_f32_e32 v[18:19], v19
	v_cmp_eq_u32_e64 s2, 0x40f, v25
	v_mul_f16_e32 v2, v28, v2
	v_and_b32_e32 v27, 7, v3
	s_wait_alu 0xf1ff
	v_cndmask_b32_e64 v20, 0, 1, s0
	v_cmp_gt_i32_e64 s0, 31, v25
	v_lshrrev_b32_e32 v3, 2, v3
	v_fma_f16 v2, v129, v22, -v2
	v_cmp_eq_u32_e64 s1, 3, v27
	v_and_or_b32 v20, 0xffe, v23, v20
	v_sub_nc_u32_e32 v23, 0x3f1, v26
	s_wait_alu 0xf1ff
	v_cndmask_b32_e64 v24, 0x7c00, v24, s0
	v_cmp_lt_i32_e64 s0, 5, v27
	v_add_nc_u32_e32 v22, 0xfffffc10, v26
	v_or_b32_e32 v27, 0x1000, v20
	v_med3_i32 v23, v23, 0, 13
	v_cndmask_b32_e64 v12, v24, v12, s2
	s_or_b32 s0, s1, s0
	v_lshrrev_b32_e32 v29, 16, v127
	s_wait_alu 0xfffe
	v_add_co_ci_u32_e64 v3, s0, 0, v3, s0
	v_lshrrev_b32_e32 v24, v23, v27
	v_and_or_b32 v25, 0x8000, v13, v12
	v_cmp_gt_i32_e64 s0, 31, v5
	s_delay_alu instid0(VALU_DEP_3) | instskip(SKIP_2) | instid1(VALU_DEP_3)
	v_lshlrev_b32_e32 v12, v23, v24
	v_bfe_u32 v28, v15, 20, 11
	s_wait_alu 0xf1ff
	v_cndmask_b32_e64 v23, 0x7c00, v3, s0
	v_and_or_b32 v3, 0x1ff, v15, v14
	v_cmp_ne_u32_e64 s0, v12, v27
	v_cvt_f32_f16_e32 v12, v2
	v_lshrrev_b32_e32 v27, 8, v15
	s_wait_alu 0xf1ff
	s_delay_alu instid0(VALU_DEP_3)
	v_cndmask_b32_e64 v14, 0, 1, s0
	v_cmp_ne_u32_e64 s0, 0, v3
	v_mul_f64_e32 v[2:3], s[10:11], v[18:19]
	v_cvt_f64_f32_e32 v[12:13], v12
	v_lshl_or_b32 v18, v22, 12, v20
	v_or_b32_e32 v14, v24, v14
	s_wait_alu 0xf1ff
	v_cndmask_b32_e64 v26, 0, 1, s0
	v_cmp_ne_u32_e64 s0, 0, v16
	v_sub_nc_u32_e32 v24, 0x3f1, v28
	s_delay_alu instid0(VALU_DEP_3) | instskip(SKIP_1) | instid1(VALU_DEP_3)
	v_and_or_b32 v19, 0xffe, v27, v26
	s_wait_alu 0xf1ff
	v_cndmask_b32_e64 v16, 0, 1, s0
	v_cmp_gt_i32_e64 s0, 1, v22
	v_med3_i32 v24, v24, 0, 13
	s_delay_alu instid0(VALU_DEP_3) | instskip(SKIP_1) | instid1(VALU_DEP_3)
	v_lshl_or_b32 v16, v16, 9, 0x7c00
	s_wait_alu 0xf1ff
	v_cndmask_b32_e64 v14, v18, v14, s0
	v_or_b32_e32 v18, 0x1000, v19
	v_cmp_eq_u32_e64 s0, 0x40f, v5
	s_wait_alu 0xf1ff
	s_delay_alu instid0(VALU_DEP_1) | instskip(SKIP_4) | instid1(VALU_DEP_4)
	v_cndmask_b32_e64 v5, v23, v16, s0
	v_lshrrev_b32_e32 v16, 16, v17
	v_lshrrev_b32_e32 v23, v24, v18
	v_and_b32_e32 v17, 7, v14
	v_add_co_u32 v10, s0, v10, s6
	v_and_or_b32 v5, 0x8000, v16, v5
	s_delay_alu instid0(VALU_DEP_4)
	v_lshlrev_b32_e32 v16, v24, v23
	s_wait_alu 0xf1ff
	v_add_co_ci_u32_e64 v11, s0, s7, v11, s0
	v_cmp_lt_i32_e64 s0, 5, v17
	v_cmp_eq_u32_e64 s1, 3, v17
	v_lshrrev_b32_e32 v14, 2, v14
	v_cmp_ne_u32_e64 s2, v16, v18
	v_lshrrev_b32_e32 v18, 16, v4
	v_and_b32_e32 v24, 0xffff, v25
	s_or_b32 s0, s1, s0
	v_add_nc_u32_e32 v25, 0xfffffc10, v28
	s_wait_alu 0xfffe
	v_add_co_ci_u32_e64 v14, s0, 0, v14, s0
	v_cndmask_b32_e64 v16, 0, 1, s2
	v_mul_f16_e32 v17, v29, v18
	v_cmp_ne_u32_e64 s0, 0, v20
	v_and_or_b32 v2, 0x1ff, v3, v2
	v_mul_f64_e32 v[12:13], s[10:11], v[12:13]
	v_or_b32_e32 v16, v23, v16
	v_lshl_or_b32 v23, v25, 12, v19
	v_fmac_f16_e32 v17, v127, v4
	s_wait_alu 0xf1ff
	v_cndmask_b32_e64 v20, 0, 1, s0
	v_cmp_gt_i32_e64 s0, 1, v25
	v_lshrrev_b32_e32 v26, 8, v3
	v_bfe_u32 v27, v3, 20, 11
	v_lshl_or_b32 v24, v5, 16, v24
	v_lshl_or_b32 v20, v20, 9, 0x7c00
	s_wait_alu 0xf1ff
	v_cndmask_b32_e64 v23, v23, v16, s0
	v_cvt_f32_f16_e32 v16, v17
	v_cmp_ne_u32_e64 s0, 0, v2
	v_mul_f16_e32 v4, v29, v4
	v_lshrrev_b32_e32 v3, 16, v3
	v_and_b32_e32 v28, 7, v23
	v_cvt_f64_f32_e32 v[16:17], v16
	s_wait_alu 0xf1ff
	v_cndmask_b32_e64 v2, 0, 1, s0
	v_cmp_gt_i32_e64 s0, 31, v22
	v_lshrrev_b32_e32 v5, 2, v23
	v_cmp_eq_u32_e64 s1, 3, v28
	v_fma_f16 v4, v127, v18, -v4
	v_and_or_b32 v2, 0xffe, v26, v2
	s_wait_alu 0xf1ff
	v_cndmask_b32_e64 v14, 0x7c00, v14, s0
	v_cmp_eq_u32_e64 s0, 0x40f, v22
	v_sub_nc_u32_e32 v26, 0x3f1, v27
	v_add_nc_u32_e32 v18, 0xfffffc10, v27
	s_wait_alu 0xf1ff
	s_delay_alu instid0(VALU_DEP_3) | instskip(SKIP_4) | instid1(VALU_DEP_4)
	v_cndmask_b32_e64 v14, v14, v20, s0
	v_cmp_lt_i32_e64 s0, 5, v28
	v_lshrrev_b32_e32 v20, 16, v21
	v_or_b32_e32 v21, 0x1000, v2
	v_med3_i32 v22, v26, 0, 13
	s_or_b32 s0, s1, s0
	s_delay_alu instid0(VALU_DEP_3)
	v_and_or_b32 v20, 0x8000, v20, v14
	s_wait_alu 0xfffe
	v_add_co_ci_u32_e64 v5, s0, 0, v5, s0
	v_lshrrev_b32_e32 v14, v22, v21
	v_cmp_ne_u32_e64 s0, 0, v19
	v_lshrrev_b32_e32 v26, 8, v13
	v_bfe_u32 v27, v13, 20, 11
	v_and_b32_e32 v20, 0xffff, v20
	v_lshlrev_b32_e32 v22, v22, v14
	s_wait_alu 0xf1ff
	v_cndmask_b32_e64 v19, 0, 1, s0
	v_cmp_gt_i32_e64 s0, 31, v25
	s_delay_alu instid0(VALU_DEP_2) | instskip(SKIP_1) | instid1(VALU_DEP_2)
	v_lshl_or_b32 v19, v19, 9, 0x7c00
	s_wait_alu 0xf1ff
	v_cndmask_b32_e64 v23, 0x7c00, v5, s0
	v_and_or_b32 v5, 0x1ff, v13, v12
	v_cmp_ne_u32_e64 s0, v22, v21
	v_cvt_f32_f16_e32 v21, v4
	s_wait_alu 0xf1ff
	s_delay_alu instid0(VALU_DEP_2) | instskip(SKIP_3) | instid1(VALU_DEP_4)
	v_cndmask_b32_e64 v12, 0, 1, s0
	v_cmp_ne_u32_e64 s0, 0, v5
	v_mul_f64_e32 v[4:5], s[10:11], v[16:17]
	v_cvt_f64_f32_e32 v[16:17], v21
	v_or_b32_e32 v12, v14, v12
	s_wait_alu 0xf1ff
	v_cndmask_b32_e64 v22, 0, 1, s0
	v_cmp_eq_u32_e64 s0, 0x40f, v25
	v_lshl_or_b32 v14, v18, 12, v2
	s_delay_alu instid0(VALU_DEP_3)
	v_and_or_b32 v21, 0xffe, v26, v22
	v_sub_nc_u32_e32 v22, 0x3f1, v27
	s_wait_alu 0xf1ff
	v_cndmask_b32_e64 v19, v23, v19, s0
	v_cmp_gt_i32_e64 s0, 1, v18
	v_lshrrev_b32_e32 v23, 16, v15
	v_or_b32_e32 v25, 0x1000, v21
	v_med3_i32 v22, v22, 0, 13
	s_wait_alu 0xf1ff
	v_cndmask_b32_e64 v12, v14, v12, s0
	v_add_co_u32 v14, s0, v10, s6
	v_and_or_b32 v19, 0x8000, v23, v19
	v_lshrrev_b32_e32 v23, v22, v25
	s_wait_alu 0xf1ff
	v_add_co_ci_u32_e64 v15, s0, s7, v11, s0
	v_and_b32_e32 v26, 7, v12
	global_store_b32 v[10:11], v0, off
	global_store_b32 v[14:15], v24, off
	v_lshlrev_b32_e32 v0, v22, v23
	v_lshrrev_b32_e32 v10, 2, v12
	v_cmp_lt_i32_e64 s0, 5, v26
	v_cmp_eq_u32_e64 s1, 3, v26
	v_lshl_or_b32 v19, v19, 16, v20
	v_cmp_ne_u32_e64 s2, v0, v25
	v_lshrrev_b32_e32 v20, 16, v1
	v_lshrrev_b32_e32 v26, 16, v125
	s_or_b32 s0, s1, s0
	v_add_nc_u32_e32 v12, 0xfffffc10, v27
	s_wait_alu 0xfffe
	v_add_co_ci_u32_e64 v24, s0, 0, v10, s0
	v_cndmask_b32_e64 v0, 0, 1, s2
	v_cmp_ne_u32_e64 s0, 0, v2
	v_mul_f16_e32 v22, v26, v20
	v_and_or_b32 v4, 0x1ff, v5, v4
	v_mul_f64_e32 v[10:11], s[10:11], v[16:17]
	v_or_b32_e32 v0, v23, v0
	v_lshl_or_b32 v23, v12, 12, v21
	s_wait_alu 0xf1ff
	v_cndmask_b32_e64 v2, 0, 1, s0
	v_cmp_gt_i32_e64 s0, 1, v12
	v_fmac_f16_e32 v22, v125, v1
	v_cmp_eq_u32_e64 s2, 0x40f, v18
	v_lshrrev_b32_e32 v27, 16, v119
	v_lshl_or_b32 v2, v2, 9, 0x7c00
	s_wait_alu 0xf1ff
	v_cndmask_b32_e64 v0, v23, v0, s0
	v_cmp_ne_u32_e64 s0, 0, v4
	v_cvt_f32_f16_e32 v16, v22
	v_lshrrev_b32_e32 v22, 8, v5
	v_bfe_u32 v23, v5, 20, 11
	v_and_b32_e32 v25, 7, v0
	s_wait_alu 0xf1ff
	v_cndmask_b32_e64 v4, 0, 1, s0
	v_cvt_f64_f32_e32 v[16:17], v16
	v_cmp_gt_i32_e64 s0, 31, v18
	v_lshrrev_b32_e32 v0, 2, v0
	v_cmp_eq_u32_e64 s1, 3, v25
	v_and_or_b32 v4, 0xffe, v22, v4
	v_sub_nc_u32_e32 v22, 0x3f1, v23
	s_wait_alu 0xf1ff
	v_cndmask_b32_e64 v24, 0x7c00, v24, s0
	v_cmp_lt_i32_e64 s0, 5, v25
	v_or_b32_e32 v25, 0x1000, v4
	v_med3_i32 v22, v22, 0, 13
	s_delay_alu instid0(VALU_DEP_4) | instskip(NEXT) | instid1(VALU_DEP_4)
	v_cndmask_b32_e64 v2, v24, v2, s2
	s_or_b32 s0, s1, s0
	s_wait_alu 0xfffe
	v_add_co_ci_u32_e64 v0, s0, 0, v0, s0
	v_lshrrev_b32_e32 v18, v22, v25
	v_cmp_ne_u32_e64 s0, 0, v21
	v_and_or_b32 v24, 0x8000, v3, v2
	s_delay_alu instid0(VALU_DEP_3) | instskip(SKIP_1) | instid1(VALU_DEP_3)
	v_lshlrev_b32_e32 v22, v22, v18
	s_wait_alu 0xf1ff
	v_cndmask_b32_e64 v21, 0, 1, s0
	v_cmp_gt_i32_e64 s0, 31, v12
	v_and_or_b32 v10, 0x1ff, v11, v10
	s_delay_alu instid0(VALU_DEP_3) | instskip(SKIP_1) | instid1(VALU_DEP_3)
	v_lshl_or_b32 v2, v21, 9, 0x7c00
	s_wait_alu 0xf1ff
	v_cndmask_b32_e64 v0, 0x7c00, v0, s0
	v_cmp_ne_u32_e64 s0, v22, v25
	v_add_nc_u32_e32 v21, 0xfffffc10, v23
	s_wait_alu 0xf1ff
	s_delay_alu instid0(VALU_DEP_2) | instskip(SKIP_1) | instid1(VALU_DEP_3)
	v_cndmask_b32_e64 v3, 0, 1, s0
	v_cmp_eq_u32_e64 s0, 0x40f, v12
	v_lshl_or_b32 v12, v21, 12, v4
	s_wait_alu 0xf1ff
	s_delay_alu instid0(VALU_DEP_2)
	v_cndmask_b32_e64 v22, v0, v2, s0
	v_cmp_ne_u32_e64 s0, 0, v10
	v_or_b32_e32 v2, v18, v3
	v_mul_f16_e32 v3, v26, v1
	v_mul_f64_e32 v[0:1], s[10:11], v[16:17]
	v_lshrrev_b32_e32 v16, 8, v11
	s_wait_alu 0xf1ff
	v_cndmask_b32_e64 v10, 0, 1, s0
	v_bfe_u32 v17, v11, 20, 11
	v_cmp_gt_i32_e64 s0, 1, v21
	v_fma_f16 v3, v125, v20, -v3
	v_lshrrev_b32_e32 v26, 16, v124
	v_and_or_b32 v10, 0xffe, v16, v10
	v_lshrrev_b32_e32 v16, 16, v13
	s_wait_alu 0xf1ff
	v_cndmask_b32_e64 v18, v12, v2, s0
	v_sub_nc_u32_e32 v12, 0x3f1, v17
	v_cvt_f32_f16_e32 v2, v3
	v_or_b32_e32 v23, 0x1000, v10
	v_add_nc_u32_e32 v17, 0xfffffc10, v17
	v_and_b32_e32 v20, 7, v18
	v_med3_i32 v25, v12, 0, 13
	v_cvt_f64_f32_e32 v[2:3], v2
	v_add_co_u32 v12, s0, v14, s6
	s_wait_alu 0xf1ff
	v_add_co_ci_u32_e64 v13, s0, s7, v15, s0
	v_and_or_b32 v14, 0x8000, v16, v22
	v_lshrrev_b32_e32 v16, v25, v23
	v_cmp_lt_i32_e64 s0, 5, v20
	v_cmp_eq_u32_e64 s1, 3, v20
	v_and_b32_e32 v15, 0xffff, v24
	v_lshrrev_b32_e32 v18, 2, v18
	global_store_b32 v[12:13], v19, off
	v_lshlrev_b32_e32 v19, v25, v16
	s_or_b32 s0, s1, s0
	v_lshl_or_b32 v20, v14, 16, v15
	s_wait_alu 0xfffe
	v_add_co_ci_u32_e64 v14, s0, 0, v18, s0
	v_cmp_ne_u32_e64 s0, v19, v23
	v_lshrrev_b32_e32 v18, 16, v6
	v_lshrrev_b32_e32 v11, 16, v11
	s_wait_alu 0xf1ff
	s_delay_alu instid0(VALU_DEP_3) | instskip(SKIP_4) | instid1(VALU_DEP_3)
	v_cndmask_b32_e64 v15, 0, 1, s0
	v_cmp_gt_i32_e64 s0, 31, v21
	v_and_or_b32 v0, 0x1ff, v1, v0
	v_bfe_u32 v24, v1, 20, 11
	s_wait_alu 0xf1ff
	v_cndmask_b32_e64 v19, 0x7c00, v14, s0
	v_cmp_ne_u32_e64 s0, 0, v4
	v_or_b32_e32 v14, v16, v15
	v_lshl_or_b32 v15, v17, 12, v10
	v_mul_f16_e32 v16, v26, v18
	v_sub_nc_u32_e32 v25, 0x3f1, v24
	s_wait_alu 0xf1ff
	v_cndmask_b32_e64 v22, 0, 1, s0
	v_cmp_gt_i32_e64 s0, 1, v17
	v_fmac_f16_e32 v16, v124, v6
	v_mul_f64_e32 v[3:4], s[10:11], v[2:3]
	v_mul_f16_e32 v6, v26, v6
	s_wait_alu 0xf1ff
	v_cndmask_b32_e64 v23, v15, v14, s0
	v_cmp_ne_u32_e64 s0, 0, v0
	v_lshrrev_b32_e32 v14, 8, v1
	v_cvt_f32_f16_e32 v2, v16
	v_lshl_or_b32 v16, v22, 9, 0x7c00
	v_and_b32_e32 v22, 7, v23
	s_wait_alu 0xf1ff
	v_cndmask_b32_e64 v0, 0, 1, s0
	v_cmp_eq_u32_e64 s0, 0x40f, v21
	v_lshrrev_b32_e32 v21, 16, v5
	v_lshrrev_b32_e32 v5, 2, v23
	v_cmp_eq_u32_e64 s1, 3, v22
	v_and_or_b32 v0, 0xffe, v14, v0
	v_cvt_f64_f32_e32 v[14:15], v2
	s_wait_alu 0xf1ff
	v_cndmask_b32_e64 v2, v19, v16, s0
	v_cmp_lt_i32_e64 s0, 5, v22
	v_med3_i32 v19, v25, 0, 13
	v_or_b32_e32 v16, 0x1000, v0
	v_fma_f16 v6, v124, v18, -v6
	v_and_or_b32 v2, 0x8000, v21, v2
	s_or_b32 s0, s1, s0
	v_lshrrev_b32_e32 v25, 16, v121
	s_wait_alu 0xfffe
	v_add_co_ci_u32_e64 v5, s0, 0, v5, s0
	v_lshrrev_b32_e32 v22, v19, v16
	v_cmp_ne_u32_e64 s0, 0, v10
	v_cvt_f32_f16_e32 v6, v6
	v_and_b32_e32 v2, 0xffff, v2
	v_lshrrev_b32_e32 v1, 16, v1
	v_lshlrev_b32_e32 v18, v19, v22
	s_wait_alu 0xf1ff
	v_cndmask_b32_e64 v10, 0, 1, s0
	v_cmp_gt_i32_e64 s0, 31, v17
	s_delay_alu instid0(VALU_DEP_2) | instskip(SKIP_1) | instid1(VALU_DEP_2)
	v_lshl_or_b32 v10, v10, 9, 0x7c00
	s_wait_alu 0xf1ff
	v_cndmask_b32_e64 v19, 0x7c00, v5, s0
	v_cvt_f64_f32_e32 v[5:6], v6
	v_cmp_ne_u32_e64 s0, v18, v16
	v_add_nc_u32_e32 v18, 0xfffffc10, v24
	v_and_or_b32 v3, 0x1ff, v4, v3
	s_wait_alu 0xf1ff
	s_delay_alu instid0(VALU_DEP_3) | instskip(SKIP_2) | instid1(VALU_DEP_3)
	v_cndmask_b32_e64 v16, 0, 1, s0
	v_cmp_eq_u32_e64 s0, 0x40f, v17
	v_lshl_or_b32 v17, v18, 12, v0
	v_or_b32_e32 v16, v22, v16
	s_wait_alu 0xf1ff
	s_delay_alu instid0(VALU_DEP_3) | instskip(SKIP_1) | instid1(VALU_DEP_2)
	v_cndmask_b32_e64 v10, v19, v10, s0
	v_cmp_gt_i32_e64 s0, 1, v18
	v_and_or_b32 v19, 0x8000, v11, v10
	v_mul_f64_e32 v[10:11], s[10:11], v[14:15]
	s_wait_alu 0xf1ff
	s_delay_alu instid0(VALU_DEP_3)
	v_cndmask_b32_e64 v16, v17, v16, s0
	v_cmp_ne_u32_e64 s0, 0, v3
	v_lshrrev_b32_e32 v14, 8, v4
	v_bfe_u32 v17, v4, 20, 11
	v_lshl_or_b32 v19, v19, 16, v2
	v_and_b32_e32 v15, 7, v16
	s_wait_alu 0xf1ff
	v_cndmask_b32_e64 v3, 0, 1, s0
	v_add_co_u32 v12, s0, v12, s4
	s_wait_alu 0xf1ff
	v_add_co_ci_u32_e64 v13, s0, s5, v13, s0
	s_delay_alu instid0(VALU_DEP_3)
	v_and_or_b32 v21, 0xffe, v14, v3
	ds_load_2addr_stride64_b32 v[2:3], v107 offset0:28 offset1:35
	v_sub_nc_u32_e32 v14, 0x3f1, v17
	v_cmp_lt_i32_e64 s0, 5, v15
	v_cmp_eq_u32_e64 s1, 3, v15
	v_lshrrev_b32_e32 v16, 2, v16
	v_or_b32_e32 v22, 0x1000, v21
	v_med3_i32 v23, v14, 0, 13
	v_mul_f64_e32 v[5:6], s[10:11], v[5:6]
	s_or_b32 s0, s1, s0
	v_add_co_u32 v14, s2, v12, s6
	s_wait_alu 0xfffe
	v_add_co_ci_u32_e64 v16, s0, 0, v16, s0
	v_lshrrev_b32_e32 v24, v23, v22
	v_cmp_gt_i32_e64 s0, 31, v18
	s_wait_alu 0xf1ff
	v_add_co_ci_u32_e64 v15, s2, s7, v13, s2
	global_store_b32 v[12:13], v20, off
	global_store_b32 v[14:15], v19, off
	v_lshlrev_b32_e32 v12, v23, v24
	v_cndmask_b32_e64 v16, 0x7c00, v16, s0
	s_wait_dscnt 0x0
	v_lshrrev_b32_e32 v19, 16, v2
	v_cmp_ne_u32_e64 s0, 0, v0
	v_add_nc_u32_e32 v20, 0xfffffc10, v17
	v_and_or_b32 v10, 0x1ff, v11, v10
	v_bfe_u32 v23, v11, 20, 11
	v_mul_f16_e32 v13, v25, v19
	s_wait_alu 0xf1ff
	v_cndmask_b32_e64 v0, 0, 1, s0
	v_cmp_ne_u32_e64 s0, v12, v22
	v_lshl_or_b32 v17, v20, 12, v21
	v_lshrrev_b32_e32 v22, 8, v11
	v_fmac_f16_e32 v13, v121, v2
	v_lshl_or_b32 v0, v0, 9, 0x7c00
	s_wait_alu 0xf1ff
	v_cndmask_b32_e64 v12, 0, 1, s0
	v_cmp_ne_u32_e64 s0, 0, v10
	v_mul_f16_e32 v2, v25, v2
	v_cvt_f32_f16_e32 v13, v13
	v_lshrrev_b32_e32 v4, 16, v4
	v_or_b32_e32 v12, v24, v12
	s_wait_alu 0xf1ff
	v_cndmask_b32_e64 v10, 0, 1, s0
	v_cmp_gt_i32_e64 s0, 1, v20
	v_fma_f16 v2, v121, v19, -v2
	v_add_nc_u32_e32 v19, 0xfffffc10, v23
	v_lshrrev_b32_e32 v11, 16, v11
	v_and_or_b32 v10, 0xffe, v22, v10
	s_wait_alu 0xf1ff
	v_cndmask_b32_e64 v17, v17, v12, s0
	v_cvt_f64_f32_e32 v[12:13], v13
	v_sub_nc_u32_e32 v22, 0x3f1, v23
	v_cmp_eq_u32_e64 s0, 0x40f, v18
	v_or_b32_e32 v18, 0x1000, v10
	v_and_or_b32 v5, 0x1ff, v6, v5
	v_bfe_u32 v24, v6, 20, 11
	v_med3_i32 v22, v22, 0, 13
	s_wait_alu 0xf1ff
	v_cndmask_b32_e64 v0, v16, v0, s0
	v_and_b32_e32 v16, 7, v17
	v_cmp_ne_u32_e64 s2, 0, v5
	v_lshrrev_b32_e32 v17, 2, v17
	v_cvt_f32_f16_e32 v2, v2
	v_and_or_b32 v0, 0x8000, v1, v0
	v_lshrrev_b32_e32 v1, v22, v18
	v_cmp_lt_i32_e64 s0, 5, v16
	v_cmp_eq_u32_e64 s1, 3, v16
	s_wait_alu 0xf1ff
	v_cndmask_b32_e64 v5, 0, 1, s2
	v_lshrrev_b32_e32 v16, 8, v6
	v_lshlrev_b32_e32 v22, v22, v1
	v_and_b32_e32 v0, 0xffff, v0
	s_or_b32 s0, s1, s0
	v_lshrrev_b32_e32 v6, 16, v6
	v_and_or_b32 v5, 0xffe, v16, v5
	v_sub_nc_u32_e32 v16, 0x3f1, v24
	v_cmp_ne_u32_e64 s2, v22, v18
	s_wait_alu 0xfffe
	v_add_co_ci_u32_e64 v25, s0, 0, v17, s0
	v_or_b32_e32 v22, 0x1000, v5
	v_med3_i32 v23, v16, 0, 13
	s_wait_alu 0xf1ff
	v_cndmask_b32_e64 v18, 0, 1, s2
	v_cmp_ne_u32_e64 s0, 0, v21
	v_cvt_f64_f32_e32 v[16:17], v2
	v_add_nc_u32_e32 v24, 0xfffffc10, v24
	v_lshrrev_b32_e32 v26, v23, v22
	v_or_b32_e32 v1, v1, v18
	v_lshl_or_b32 v18, v19, 12, v10
	s_wait_alu 0xf1ff
	v_cndmask_b32_e64 v2, 0, 1, s0
	v_cmp_gt_i32_e64 s0, 1, v19
	v_mul_f64_e32 v[12:13], s[10:11], v[12:13]
	v_cmp_gt_i32_e64 s2, 1, v24
	s_delay_alu instid0(VALU_DEP_4) | instskip(SKIP_4) | instid1(VALU_DEP_3)
	v_lshl_or_b32 v2, v2, 9, 0x7c00
	s_wait_alu 0xf1ff
	v_cndmask_b32_e64 v18, v18, v1, s0
	v_lshlrev_b32_e32 v1, v23, v26
	v_cmp_gt_i32_e64 s0, 31, v20
	v_and_b32_e32 v23, 7, v18
	v_lshrrev_b32_e32 v18, 2, v18
	s_wait_alu 0xf1ff
	s_delay_alu instid0(VALU_DEP_3) | instskip(SKIP_3) | instid1(VALU_DEP_2)
	v_cndmask_b32_e64 v21, 0x7c00, v25, s0
	v_cmp_ne_u32_e64 s0, v1, v22
	v_cmp_eq_u32_e64 s1, 3, v23
	s_wait_alu 0xf1ff
	v_cndmask_b32_e64 v22, 0, 1, s0
	v_cmp_eq_u32_e64 s0, 0x40f, v20
	s_wait_alu 0xf1ff
	s_delay_alu instid0(VALU_DEP_1) | instskip(SKIP_4) | instid1(VALU_DEP_3)
	v_cndmask_b32_e64 v20, v21, v2, s0
	ds_load_2addr_stride64_b32 v[1:2], v9 offset0:71 offset1:78
	v_cmp_lt_i32_e64 s0, 5, v23
	v_or_b32_e32 v9, v26, v22
	v_lshl_or_b32 v21, v24, 12, v5
	s_or_b32 s0, s1, s0
	s_delay_alu instid0(VALU_DEP_1)
	v_cndmask_b32_e64 v21, v21, v9, s2
	s_wait_alu 0xfffe
	v_add_co_ci_u32_e64 v9, s0, 0, v18, s0
	v_cmp_gt_i32_e64 s0, 31, v19
	v_and_or_b32 v18, 0x8000, v4, v20
	v_and_b32_e32 v4, 7, v21
	v_and_or_b32 v12, 0x1ff, v13, v12
	s_wait_alu 0xf1ff
	v_cndmask_b32_e64 v20, 0x7c00, v9, s0
	v_cmp_ne_u32_e64 s0, 0, v10
	v_mul_f64_e32 v[9:10], s[10:11], v[16:17]
	v_cmp_eq_u32_e64 s1, 3, v4
	s_wait_dscnt 0x0
	v_lshrrev_b32_e32 v23, 16, v1
	s_wait_alu 0xf1ff
	v_cndmask_b32_e64 v22, 0, 1, s0
	v_cmp_lt_i32_e64 s0, 5, v4
	v_lshrrev_b32_e32 v4, 2, v21
	v_mul_f16_e32 v17, v27, v23
	s_delay_alu instid0(VALU_DEP_4) | instskip(NEXT) | instid1(VALU_DEP_4)
	v_lshl_or_b32 v16, v22, 9, 0x7c00
	s_or_b32 s0, s1, s0
	v_bfe_u32 v22, v13, 20, 11
	s_wait_alu 0xfffe
	v_add_co_ci_u32_e64 v21, s0, 0, v4, s0
	v_cmp_ne_u32_e64 s0, 0, v12
	v_fmac_f16_e32 v17, v119, v1
	v_lshrrev_b32_e32 v12, 8, v13
	v_mul_f16_e32 v1, v27, v1
	v_lshrrev_b32_e32 v27, 16, v117
	s_wait_alu 0xf1ff
	v_cndmask_b32_e64 v4, 0, 1, s0
	v_cmp_ne_u32_e64 s0, 0, v5
	v_cvt_f32_f16_e32 v17, v17
	v_fma_f16 v1, v119, v23, -v1
	s_delay_alu instid0(VALU_DEP_4)
	v_and_or_b32 v26, 0xffe, v12, v4
	s_wait_alu 0xf1ff
	v_cndmask_b32_e64 v25, 0, 1, s0
	v_sub_nc_u32_e32 v12, 0x3f1, v22
	v_cmp_gt_i32_e64 s0, 31, v24
	v_cvt_f64_f32_e32 v[4:5], v17
	v_cvt_f32_f16_e32 v1, v1
	v_lshl_or_b32 v25, v25, 9, 0x7c00
	v_med3_i32 v12, v12, 0, 13
	s_wait_alu 0xf1ff
	v_cndmask_b32_e64 v17, 0x7c00, v21, s0
	v_or_b32_e32 v21, 0x1000, v26
	v_cmp_eq_u32_e64 s0, 0x40f, v19
	s_delay_alu instid0(VALU_DEP_2) | instskip(SKIP_1) | instid1(VALU_DEP_2)
	v_lshrrev_b32_e32 v19, v12, v21
	s_wait_alu 0xf1ff
	v_cndmask_b32_e64 v16, v20, v16, s0
	v_cmp_eq_u32_e64 s0, 0x40f, v24
	v_lshl_or_b32 v24, v18, 16, v0
	v_lshrrev_b32_e32 v18, 8, v10
	v_lshlrev_b32_e32 v0, v12, v19
	v_and_or_b32 v16, 0x8000, v11, v16
	s_wait_alu 0xf1ff
	v_cndmask_b32_e64 v17, v17, v25, s0
	v_cvt_f64_f32_e32 v[11:12], v1
	v_bfe_u32 v20, v10, 20, 11
	v_cmp_ne_u32_e64 s0, v0, v21
	v_and_b32_e32 v16, 0xffff, v16
	v_and_or_b32 v17, 0x8000, v6, v17
	v_and_or_b32 v6, 0x1ff, v10, v9
	v_add_nc_u32_e32 v9, 0xfffffc10, v22
	s_wait_alu 0xf1ff
	v_cndmask_b32_e64 v0, 0, 1, s0
	v_lshrrev_b32_e32 v10, 16, v10
	v_lshl_or_b32 v23, v17, 16, v16
	v_cmp_ne_u32_e64 s0, 0, v6
	v_lshl_or_b32 v21, v9, 12, v26
	v_or_b32_e32 v19, v19, v0
	ds_load_2addr_stride64_b32 v[0:1], v7 offset0:115 offset1:122
	s_wait_alu 0xf1ff
	v_cndmask_b32_e64 v6, 0, 1, s0
	v_cmp_gt_i32_e64 s0, 1, v9
	s_delay_alu instid0(VALU_DEP_2) | instskip(SKIP_2) | instid1(VALU_DEP_3)
	v_and_or_b32 v22, 0xffe, v18, v6
	v_sub_nc_u32_e32 v6, 0x3f1, v20
	s_wait_alu 0xf1ff
	v_cndmask_b32_e64 v7, v21, v19, s0
	v_add_co_u32 v14, s0, v14, s6
	v_or_b32_e32 v18, 0x1000, v22
	v_med3_i32 v19, v6, 0, 13
	v_mul_f64_e32 v[5:6], s[10:11], v[4:5]
	s_wait_alu 0xf1ff
	v_add_co_ci_u32_e64 v15, s0, s7, v15, s0
	v_and_b32_e32 v4, 7, v7
	v_lshrrev_b32_e32 v21, v19, v18
	v_add_co_u32 v16, s0, v14, s6
	s_wait_alu 0xf1ff
	v_add_co_ci_u32_e64 v17, s0, s7, v15, s0
	s_delay_alu instid0(VALU_DEP_3)
	v_lshlrev_b32_e32 v19, v19, v21
	v_cmp_lt_i32_e64 s0, 5, v4
	v_cmp_eq_u32_e64 s1, 3, v4
	v_lshrrev_b32_e32 v7, 2, v7
	s_wait_dscnt 0x0
	v_lshrrev_b32_e32 v4, 16, v0
	v_cmp_ne_u32_e64 s2, v19, v18
	v_add_nc_u32_e32 v20, 0xfffffc10, v20
	s_or_b32 s0, s1, s0
	v_mul_f64_e32 v[11:12], s[10:11], v[11:12]
	s_wait_alu 0xfffe
	v_add_co_ci_u32_e64 v7, s0, 0, v7, s0
	v_cndmask_b32_e64 v18, 0, 1, s2
	v_mul_f16_e32 v19, v27, v4
	v_cmp_ne_u32_e64 s0, 0, v26
	s_delay_alu instid0(VALU_DEP_3) | instskip(SKIP_1) | instid1(VALU_DEP_4)
	v_or_b32_e32 v18, v21, v18
	v_lshl_or_b32 v21, v20, 12, v22
	v_fmac_f16_e32 v19, v117, v0
	s_wait_alu 0xf1ff
	v_cndmask_b32_e64 v25, 0, 1, s0
	v_cmp_gt_i32_e64 s0, 1, v20
	v_mul_f16_e32 v0, v27, v0
	s_delay_alu instid0(VALU_DEP_3) | instskip(SKIP_1) | instid1(VALU_DEP_3)
	v_lshl_or_b32 v25, v25, 9, 0x7c00
	s_wait_alu 0xf1ff
	v_cndmask_b32_e64 v21, v21, v18, s0
	v_cvt_f32_f16_e32 v18, v19
	v_cmp_gt_i32_e64 s0, 31, v9
	v_fma_f16 v0, v117, v4, -v0
	v_and_or_b32 v5, 0x1ff, v6, v5
	v_and_b32_e32 v26, 7, v21
	v_cvt_f64_f32_e32 v[18:19], v18
	s_wait_alu 0xf1ff
	v_cndmask_b32_e64 v7, 0x7c00, v7, s0
	v_cmp_eq_u32_e64 s0, 0x40f, v9
	v_cmp_ne_u32_e64 s1, 0, v5
	v_lshrrev_b32_e32 v9, 16, v13
	v_lshrrev_b32_e32 v13, 8, v6
	v_cvt_f32_f16_e32 v0, v0
	s_wait_alu 0xf1ff
	v_cndmask_b32_e64 v7, v7, v25, s0
	v_cmp_lt_i32_e64 s0, 5, v26
	v_cndmask_b32_e64 v5, 0, 1, s1
	v_cmp_eq_u32_e64 s1, 3, v26
	v_bfe_u32 v25, v6, 20, 11
	v_and_or_b32 v7, 0x8000, v9, v7
	v_lshrrev_b32_e32 v9, 2, v21
	v_and_or_b32 v26, 0xffe, v13, v5
	s_or_b32 s0, s1, s0
	v_sub_nc_u32_e32 v5, 0x3f1, v25
	v_and_or_b32 v4, 0x1ff, v12, v11
	s_wait_alu 0xfffe
	v_add_co_ci_u32_e64 v9, s0, 0, v9, s0
	v_cmp_ne_u32_e64 s0, 0, v22
	v_or_b32_e32 v22, 0x1000, v26
	v_med3_i32 v5, v5, 0, 13
	v_lshrrev_b32_e32 v28, 8, v12
	v_bfe_u32 v29, v12, 20, 11
	s_wait_alu 0xf1ff
	v_cndmask_b32_e64 v13, 0, 1, s0
	v_cmp_gt_i32_e64 s0, 31, v20
	v_lshrrev_b32_e32 v27, v5, v22
	v_and_b32_e32 v7, 0xffff, v7
	v_lshrrev_b32_e32 v6, 16, v6
	v_lshl_or_b32 v13, v13, 9, 0x7c00
	s_wait_alu 0xf1ff
	v_cndmask_b32_e64 v9, 0x7c00, v9, s0
	v_cmp_eq_u32_e64 s0, 0x40f, v20
	v_cvt_f64_f32_e32 v[20:21], v0
	v_lshlrev_b32_e32 v11, v5, v27
	v_lshrrev_b32_e32 v12, 16, v12
	s_wait_alu 0xf1ff
	v_cndmask_b32_e64 v9, v9, v13, s0
	v_cmp_ne_u32_e64 s0, 0, v4
	v_mul_f64_e32 v[18:19], s[10:11], v[18:19]
	ds_load_2addr_stride64_b32 v[4:5], v8 offset0:159 offset1:166
	v_sub_nc_u32_e32 v8, 0x3f1, v29
	v_and_or_b32 v9, 0x8000, v10, v9
	s_wait_alu 0xf1ff
	v_cndmask_b32_e64 v13, 0, 1, s0
	v_cmp_ne_u32_e64 s0, v11, v22
	v_add_nc_u32_e32 v11, 0xfffffc10, v25
	v_med3_i32 v8, v8, 0, 13
	global_store_b32 v[14:15], v24, off
	global_store_b32 v[16:17], v23, off
	v_and_or_b32 v22, 0xffe, v28, v13
	s_wait_alu 0xf1ff
	v_cndmask_b32_e64 v0, 0, 1, s0
	v_lshl_or_b32 v13, v11, 12, v26
	v_cmp_gt_i32_e64 s0, 1, v11
	v_lshl_or_b32 v23, v9, 16, v7
	v_or_b32_e32 v25, 0x1000, v22
	v_or_b32_e32 v0, v27, v0
	v_lshrrev_b32_e32 v27, 16, v116
	v_cmp_eq_u32_e64 s2, 0x40f, v11
	s_delay_alu instid0(VALU_DEP_4)
	v_lshrrev_b32_e32 v10, v8, v25
	s_wait_alu 0xf1ff
	v_cndmask_b32_e64 v0, v13, v0, s0
	v_add_co_u32 v7, s0, v16, s4
	s_wait_dscnt 0x0
	v_lshrrev_b32_e32 v15, 16, v4
	v_lshlrev_b32_e32 v13, v8, v10
	v_and_b32_e32 v9, 7, v0
	s_wait_alu 0xf1ff
	v_add_co_ci_u32_e64 v8, s0, s5, v17, s0
	v_lshrrev_b32_e32 v0, 2, v0
	v_cmp_ne_u32_e64 s1, v13, v25
	v_cmp_lt_i32_e64 s0, 5, v9
	v_add_nc_u32_e32 v17, 0xfffffc10, v29
	v_mul_f16_e32 v14, v27, v15
	global_store_b32 v[7:8], v23, off
	s_wait_alu 0xf1ff
	v_cndmask_b32_e64 v13, 0, 1, s1
	v_cmp_eq_u32_e64 s1, 3, v9
	v_lshl_or_b32 v16, v17, 12, v22
	v_fmac_f16_e32 v14, v116, v4
	v_and_or_b32 v18, 0x1ff, v19, v18
	v_or_b32_e32 v13, v10, v13
	v_mul_f64_e32 v[9:10], s[10:11], v[20:21]
	s_or_b32 s0, s1, s0
	v_cvt_f32_f16_e32 v14, v14
	s_wait_alu 0xfffe
	v_add_co_ci_u32_e64 v0, s0, 0, v0, s0
	v_cmp_gt_i32_e64 s0, 1, v17
	v_lshrrev_b32_e32 v20, 8, v19
	v_bfe_u32 v21, v19, 20, 11
	v_mul_f16_e32 v4, v27, v4
	v_lshrrev_b32_e32 v19, 16, v19
	s_wait_alu 0xf1ff
	v_cndmask_b32_e64 v16, v16, v13, s0
	v_cmp_ne_u32_e64 s0, 0, v18
	v_cvt_f64_f32_e32 v[13:14], v14
	v_fma_f16 v4, v116, v15, -v4
	s_delay_alu instid0(VALU_DEP_4)
	v_and_b32_e32 v25, 7, v16
	s_wait_alu 0xf1ff
	v_cndmask_b32_e64 v18, 0, 1, s0
	v_cmp_ne_u32_e64 s0, 0, v26
	v_lshrrev_b32_e32 v16, 2, v16
	v_cvt_f32_f16_e32 v4, v4
	v_cmp_eq_u32_e64 s1, 3, v25
	v_and_or_b32 v18, 0xffe, v20, v18
	v_sub_nc_u32_e32 v20, 0x3f1, v21
	s_wait_alu 0xf1ff
	v_cndmask_b32_e64 v24, 0, 1, s0
	v_cmp_gt_i32_e64 s0, 31, v11
	v_add_nc_u32_e32 v21, 0xfffffc10, v21
	v_or_b32_e32 v26, 0x1000, v18
	v_med3_i32 v20, v20, 0, 13
	v_lshl_or_b32 v24, v24, 9, 0x7c00
	s_wait_alu 0xf1ff
	v_cndmask_b32_e64 v0, 0x7c00, v0, s0
	v_cmp_lt_i32_e64 s0, 5, v25
	v_lshrrev_b32_e32 v11, v20, v26
	s_delay_alu instid0(VALU_DEP_3) | instskip(NEXT) | instid1(VALU_DEP_3)
	v_cndmask_b32_e64 v0, v0, v24, s2
	s_or_b32 s0, s1, s0
	s_wait_alu 0xfffe
	v_add_co_ci_u32_e64 v16, s0, 0, v16, s0
	v_lshlrev_b32_e32 v20, v20, v11
	v_cmp_gt_i32_e64 s0, 31, v17
	v_and_or_b32 v9, 0x1ff, v10, v9
	v_lshrrev_b32_e32 v25, 8, v10
	v_and_or_b32 v0, 0x8000, v6, v0
	s_wait_alu 0xf1ff
	v_cndmask_b32_e64 v24, 0x7c00, v16, s0
	v_cmp_ne_u32_e64 s0, v20, v26
	v_bfe_u32 v26, v10, 20, 11
	v_cvt_f64_f32_e32 v[15:16], v4
	v_and_b32_e32 v0, 0xffff, v0
	v_mul_f64_e32 v[13:14], s[10:11], v[13:14]
	s_wait_alu 0xf1ff
	v_cndmask_b32_e64 v20, 0, 1, s0
	v_cmp_ne_u32_e64 s0, 0, v9
	s_delay_alu instid0(VALU_DEP_2) | instskip(SKIP_1) | instid1(VALU_DEP_2)
	v_or_b32_e32 v11, v11, v20
	s_wait_alu 0xf1ff
	v_cndmask_b32_e64 v9, 0, 1, s0
	v_cmp_ne_u32_e64 s0, 0, v22
	v_sub_nc_u32_e32 v22, 0x3f1, v26
	v_lshl_or_b32 v20, v21, 12, v18
	s_delay_alu instid0(VALU_DEP_4)
	v_and_or_b32 v9, 0xffe, v25, v9
	s_wait_alu 0xf1ff
	v_cndmask_b32_e64 v4, 0, 1, s0
	v_cmp_gt_i32_e64 s0, 1, v21
	v_med3_i32 v22, v22, 0, 13
	v_or_b32_e32 v25, 0x1000, v9
	s_delay_alu instid0(VALU_DEP_4) | instskip(SKIP_4) | instid1(VALU_DEP_3)
	v_lshl_or_b32 v4, v4, 9, 0x7c00
	s_wait_alu 0xf1ff
	v_cndmask_b32_e64 v11, v20, v11, s0
	v_cmp_eq_u32_e64 s0, 0x40f, v17
	v_lshrrev_b32_e32 v17, v22, v25
	v_and_b32_e32 v6, 7, v11
	s_wait_alu 0xf1ff
	s_delay_alu instid0(VALU_DEP_3) | instskip(NEXT) | instid1(VALU_DEP_2)
	v_cndmask_b32_e64 v4, v24, v4, s0
	v_cmp_lt_i32_e64 s0, 5, v6
	s_delay_alu instid0(VALU_DEP_2)
	v_and_or_b32 v20, 0x8000, v12, v4
	v_lshlrev_b32_e32 v4, v22, v17
	v_cmp_eq_u32_e64 s1, 3, v6
	v_lshrrev_b32_e32 v6, 2, v11
	v_add_nc_u32_e32 v22, 0xfffffc10, v26
	v_lshl_or_b32 v0, v20, 16, v0
	v_cmp_ne_u32_e64 s2, v4, v25
	s_or_b32 s0, s1, s0
	v_lshrrev_b32_e32 v25, 16, v113
	s_wait_alu 0xfffe
	v_add_co_ci_u32_e64 v6, s0, 0, v6, s0
	v_cndmask_b32_e64 v4, 0, 1, s2
	v_cmp_ne_u32_e64 s0, 0, v18
	v_lshl_or_b32 v11, v22, 12, v9
	v_lshrrev_b32_e32 v18, 16, v3
	v_and_or_b32 v13, 0x1ff, v14, v13
	v_or_b32_e32 v4, v17, v4
	s_wait_alu 0xf1ff
	v_cndmask_b32_e64 v17, 0, 1, s0
	v_cmp_gt_i32_e64 s0, 1, v22
	v_lshrrev_b32_e32 v23, 8, v14
	v_bfe_u32 v24, v14, 20, 11
	v_cmp_eq_u32_e64 s2, 0x40f, v21
	v_lshl_or_b32 v17, v17, 9, 0x7c00
	s_wait_alu 0xf1ff
	v_cndmask_b32_e64 v4, v11, v4, s0
	v_mul_f64_e32 v[11:12], s[10:11], v[15:16]
	v_mul_f16_e32 v15, v25, v18
	v_cmp_gt_i32_e64 s0, 31, v21
	v_lshrrev_b32_e32 v14, 16, v14
	v_and_b32_e32 v16, 7, v4
	v_lshrrev_b32_e32 v4, 2, v4
	v_fmac_f16_e32 v15, v113, v3
	s_wait_alu 0xf1ff
	v_cndmask_b32_e64 v6, 0x7c00, v6, s0
	v_cmp_ne_u32_e64 s0, 0, v13
	v_cmp_eq_u32_e64 s1, 3, v16
	v_mul_f16_e32 v3, v25, v3
	v_cvt_f32_f16_e32 v15, v15
	v_cndmask_b32_e64 v6, v6, v17, s2
	s_wait_alu 0xf1ff
	v_cndmask_b32_e64 v13, 0, 1, s0
	v_cmp_lt_i32_e64 s0, 5, v16
	v_fma_f16 v3, v113, v18, -v3
	v_cvt_f64_f32_e32 v[15:16], v15
	v_and_or_b32 v6, 0x8000, v19, v6
	v_and_or_b32 v13, 0xffe, v23, v13
	v_sub_nc_u32_e32 v23, 0x3f1, v24
	s_or_b32 s0, s1, s0
	v_cvt_f32_f16_e32 v3, v3
	s_wait_alu 0xfffe
	v_add_co_ci_u32_e64 v4, s0, 0, v4, s0
	v_or_b32_e32 v17, 0x1000, v13
	v_med3_i32 v21, v23, 0, 13
	v_cmp_ne_u32_e64 s0, 0, v9
	v_and_b32_e32 v20, 0xffff, v6
	v_lshrrev_b32_e32 v25, 16, v112
	s_delay_alu instid0(VALU_DEP_4) | instskip(SKIP_3) | instid1(VALU_DEP_3)
	v_lshrrev_b32_e32 v23, v21, v17
	s_wait_alu 0xf1ff
	v_cndmask_b32_e64 v9, 0, 1, s0
	v_cmp_gt_i32_e64 s0, 31, v22
	v_lshlrev_b32_e32 v19, v21, v23
	s_delay_alu instid0(VALU_DEP_3) | instskip(SKIP_1) | instid1(VALU_DEP_3)
	v_lshl_or_b32 v9, v9, 9, 0x7c00
	s_wait_alu 0xf1ff
	v_cndmask_b32_e64 v4, 0x7c00, v4, s0
	v_cmp_eq_u32_e64 s0, 0x40f, v22
	v_lshrrev_b32_e32 v18, 8, v12
	s_wait_alu 0xf1ff
	s_delay_alu instid0(VALU_DEP_2)
	v_cndmask_b32_e64 v21, v4, v9, s0
	v_and_or_b32 v4, 0x1ff, v12, v11
	v_cmp_ne_u32_e64 s0, v19, v17
	v_add_nc_u32_e32 v11, 0xfffffc10, v24
	v_bfe_u32 v19, v12, 20, 11
	v_lshrrev_b32_e32 v12, 16, v12
	s_wait_alu 0xf1ff
	v_cndmask_b32_e64 v9, 0, 1, s0
	v_cmp_ne_u32_e64 s0, 0, v4
	v_cvt_f64_f32_e32 v[3:4], v3
	v_lshl_or_b32 v22, v11, 12, v13
	s_delay_alu instid0(VALU_DEP_4) | instskip(SKIP_4) | instid1(VALU_DEP_3)
	v_or_b32_e32 v9, v23, v9
	s_wait_alu 0xf1ff
	v_cndmask_b32_e64 v17, 0, 1, s0
	v_cmp_gt_i32_e64 s0, 1, v11
	v_lshrrev_b32_e32 v23, 16, v10
	v_and_or_b32 v17, 0xffe, v18, v17
	v_sub_nc_u32_e32 v18, 0x3f1, v19
	s_wait_alu 0xf1ff
	v_cndmask_b32_e64 v22, v22, v9, s0
	v_mul_f64_e32 v[9:10], s[10:11], v[15:16]
	v_add_co_u32 v6, s0, v7, s6
	v_or_b32_e32 v15, 0x1000, v17
	v_med3_i32 v16, v18, 0, 13
	v_and_or_b32 v18, 0x8000, v23, v21
	v_and_b32_e32 v21, 7, v22
	s_wait_alu 0xf1ff
	v_add_co_ci_u32_e64 v7, s0, s7, v8, s0
	v_lshrrev_b32_e32 v23, v16, v15
	v_lshl_or_b32 v18, v18, 16, v20
	v_cmp_lt_i32_e64 s0, 5, v21
	v_cmp_eq_u32_e64 s1, 3, v21
	v_lshrrev_b32_e32 v20, 16, v2
	v_lshlrev_b32_e32 v8, v16, v23
	v_lshrrev_b32_e32 v16, 2, v22
	v_add_nc_u32_e32 v19, 0xfffffc10, v19
	s_or_b32 s0, s1, s0
	s_delay_alu instid0(VALU_DEP_3)
	v_cmp_ne_u32_e64 s2, v8, v15
	s_wait_alu 0xfffe
	v_add_co_ci_u32_e64 v16, s0, 0, v16, s0
	v_mul_f16_e32 v15, v25, v20
	v_cmp_ne_u32_e64 s0, 0, v13
	s_wait_alu 0xf1ff
	v_cndmask_b32_e64 v8, 0, 1, s2
	v_lshl_or_b32 v21, v19, 12, v17
	v_mul_f64_e32 v[3:4], s[10:11], v[3:4]
	v_fmac_f16_e32 v15, v112, v2
	v_cndmask_b32_e64 v13, 0, 1, s0
	v_or_b32_e32 v8, v23, v8
	v_cmp_gt_i32_e64 s0, 1, v19
	s_delay_alu instid0(VALU_DEP_3) | instskip(SKIP_1) | instid1(VALU_DEP_2)
	v_lshl_or_b32 v13, v13, 9, 0x7c00
	s_wait_alu 0xf1ff
	v_cndmask_b32_e64 v21, v21, v8, s0
	v_cvt_f32_f16_e32 v8, v15
	v_cmp_gt_i32_e64 s0, 31, v11
	v_and_or_b32 v24, 0x1ff, v10, v9
	s_delay_alu instid0(VALU_DEP_4) | instskip(NEXT) | instid1(VALU_DEP_4)
	v_and_b32_e32 v23, 7, v21
	v_cvt_f64_f32_e32 v[8:9], v8
	s_wait_alu 0xf1ff
	v_cndmask_b32_e64 v22, 0x7c00, v16, s0
	v_add_co_u32 v15, s0, v6, s6
	s_wait_alu 0xf1ff
	v_add_co_ci_u32_e64 v16, s0, s7, v7, s0
	v_cmp_eq_u32_e64 s0, 0x40f, v11
	v_cmp_ne_u32_e64 s1, 0, v24
	v_lshrrev_b32_e32 v21, 2, v21
	v_bfe_u32 v24, v10, 20, 11
	global_store_b32 v[6:7], v0, off
	global_store_b32 v[15:16], v18, off
	s_wait_alu 0xf1ff
	v_cndmask_b32_e64 v11, v22, v13, s0
	v_cmp_lt_i32_e64 s0, 5, v23
	v_cndmask_b32_e64 v13, 0, 1, s1
	v_cmp_eq_u32_e64 s1, 3, v23
	v_lshrrev_b32_e32 v22, 8, v10
	v_and_or_b32 v11, 0x8000, v14, v11
	v_lshrrev_b32_e32 v10, 16, v10
	s_delay_alu instid0(VALU_DEP_4) | instskip(NEXT) | instid1(VALU_DEP_3)
	s_or_b32 s0, s1, s0
	v_and_or_b32 v13, 0xffe, v22, v13
	s_wait_alu 0xfffe
	v_add_co_ci_u32_e64 v21, s0, 0, v21, s0
	v_cmp_ne_u32_e64 s0, 0, v17
	v_sub_nc_u32_e32 v22, 0x3f1, v24
	v_or_b32_e32 v23, 0x1000, v13
	v_and_or_b32 v3, 0x1ff, v4, v3
	v_bfe_u32 v26, v4, 20, 11
	s_wait_alu 0xf1ff
	v_cndmask_b32_e64 v17, 0, 1, s0
	v_cmp_gt_i32_e64 s0, 31, v19
	v_med3_i32 v22, v22, 0, 13
	v_and_b32_e32 v11, 0xffff, v11
	s_delay_alu instid0(VALU_DEP_4)
	v_lshl_or_b32 v17, v17, 9, 0x7c00
	s_wait_alu 0xf1ff
	v_cndmask_b32_e64 v21, 0x7c00, v21, s0
	v_cmp_eq_u32_e64 s0, 0x40f, v19
	v_lshrrev_b32_e32 v14, v22, v23
	s_wait_alu 0xf1ff
	s_delay_alu instid0(VALU_DEP_2) | instskip(SKIP_1) | instid1(VALU_DEP_3)
	v_cndmask_b32_e64 v17, v21, v17, s0
	v_cmp_ne_u32_e64 s0, 0, v3
	v_lshlrev_b32_e32 v19, v22, v14
	v_mul_f16_e32 v21, v25, v2
	v_lshrrev_b32_e32 v25, 8, v4
	v_mul_f64_e32 v[2:3], s[10:11], v[8:9]
	s_wait_alu 0xf1ff
	v_cndmask_b32_e64 v22, 0, 1, s0
	v_cmp_ne_u32_e64 s0, v19, v23
	v_fma_f16 v8, v112, v20, -v21
	v_sub_nc_u32_e32 v21, 0x3f1, v26
	v_add_nc_u32_e32 v19, 0xfffffc10, v24
	v_and_or_b32 v20, 0xffe, v25, v22
	s_wait_alu 0xf1ff
	v_cndmask_b32_e64 v9, 0, 1, s0
	v_cvt_f32_f16_e32 v8, v8
	v_med3_i32 v21, v21, 0, 13
	v_lshl_or_b32 v22, v19, 12, v13
	v_or_b32_e32 v23, 0x1000, v20
	v_or_b32_e32 v14, v14, v9
	v_cvt_f64_f32_e32 v[8:9], v8
	v_and_or_b32 v12, 0x8000, v12, v17
	v_cmp_gt_i32_e64 s0, 1, v19
	v_lshrrev_b32_e32 v17, v21, v23
	v_lshrrev_b32_e32 v24, 16, v109
	v_cmp_eq_u32_e64 s2, 0x40f, v19
	v_lshl_or_b32 v18, v12, 16, v11
	s_wait_alu 0xf1ff
	v_cndmask_b32_e64 v14, v22, v14, s0
	v_lshlrev_b32_e32 v11, v21, v17
	v_add_co_u32 v6, s0, v15, s6
	s_wait_alu 0xf1ff
	v_add_co_ci_u32_e64 v7, s0, s7, v16, s0
	v_and_b32_e32 v0, 7, v14
	v_cmp_ne_u32_e64 s1, v11, v23
	v_lshrrev_b32_e32 v15, 16, v1
	v_add_nc_u32_e32 v16, 0xfffffc10, v26
	v_lshrrev_b32_e32 v4, 16, v4
	v_cmp_lt_i32_e64 s0, 5, v0
	s_wait_alu 0xf1ff
	v_cndmask_b32_e64 v11, 0, 1, s1
	v_cmp_eq_u32_e64 s1, 3, v0
	v_lshrrev_b32_e32 v0, 2, v14
	v_mul_f16_e32 v12, v24, v15
	v_lshl_or_b32 v14, v16, 12, v20
	v_or_b32_e32 v11, v17, v11
	s_or_b32 s0, s1, s0
	v_and_or_b32 v2, 0x1ff, v3, v2
	s_wait_alu 0xfffe
	v_add_co_ci_u32_e64 v0, s0, 0, v0, s0
	v_cmp_gt_i32_e64 s0, 1, v16
	v_fmac_f16_e32 v12, v109, v1
	v_lshrrev_b32_e32 v17, 8, v3
	v_bfe_u32 v21, v3, 20, 11
	s_wait_alu 0xf1ff
	v_cndmask_b32_e64 v14, v14, v11, s0
	v_cmp_ne_u32_e64 s0, 0, v2
	v_cvt_f32_f16_e32 v12, v12
	v_mul_f64_e32 v[8:9], s[10:11], v[8:9]
	s_delay_alu instid0(VALU_DEP_4)
	v_and_b32_e32 v22, 7, v14
	s_wait_alu 0xf1ff
	v_cndmask_b32_e64 v2, 0, 1, s0
	v_cmp_ne_u32_e64 s0, 0, v13
	v_cvt_f64_f32_e32 v[11:12], v12
	v_lshrrev_b32_e32 v14, 2, v14
	v_cmp_eq_u32_e64 s1, 3, v22
	v_and_or_b32 v2, 0xffe, v17, v2
	s_wait_alu 0xf1ff
	v_cndmask_b32_e64 v13, 0, 1, s0
	v_cmp_gt_i32_e64 s0, 31, v19
	v_sub_nc_u32_e32 v17, 0x3f1, v21
	v_add_nc_u32_e32 v21, 0xfffffc10, v21
	v_or_b32_e32 v23, 0x1000, v2
	v_lshl_or_b32 v13, v13, 9, 0x7c00
	s_wait_alu 0xf1ff
	v_cndmask_b32_e64 v0, 0x7c00, v0, s0
	v_cmp_lt_i32_e64 s0, 5, v22
	v_med3_i32 v17, v17, 0, 13
	s_delay_alu instid0(VALU_DEP_3) | instskip(NEXT) | instid1(VALU_DEP_3)
	v_cndmask_b32_e64 v0, v0, v13, s2
	s_or_b32 s0, s1, s0
	s_delay_alu instid0(VALU_DEP_2)
	v_lshrrev_b32_e32 v13, v17, v23
	s_wait_alu 0xfffe
	v_add_co_ci_u32_e64 v14, s0, 0, v14, s0
	v_cmp_ne_u32_e64 s0, 0, v20
	v_and_or_b32 v20, 0x8000, v10, v0
	v_lshlrev_b32_e32 v17, v17, v13
	s_wait_alu 0xf1ff
	s_delay_alu instid0(VALU_DEP_3) | instskip(SKIP_1) | instid1(VALU_DEP_2)
	v_cndmask_b32_e64 v19, 0, 1, s0
	v_cmp_gt_i32_e64 s0, 31, v16
	v_lshl_or_b32 v19, v19, 9, 0x7c00
	s_wait_alu 0xf1ff
	s_delay_alu instid0(VALU_DEP_2) | instskip(SKIP_4) | instid1(VALU_DEP_3)
	v_cndmask_b32_e64 v14, 0x7c00, v14, s0
	v_cmp_ne_u32_e64 s0, v17, v23
	v_lshrrev_b32_e32 v23, 16, v108
	v_and_or_b32 v8, 0x1ff, v9, v8
	s_wait_alu 0xf1ff
	v_cndmask_b32_e64 v17, 0, 1, s0
	v_cmp_eq_u32_e64 s0, 0x40f, v16
	v_lshrrev_b32_e32 v16, 16, v5
	s_delay_alu instid0(VALU_DEP_3) | instskip(SKIP_1) | instid1(VALU_DEP_3)
	v_or_b32_e32 v13, v13, v17
	s_wait_alu 0xf1ff
	v_cndmask_b32_e64 v10, v14, v19, s0
	v_mul_f16_e32 v14, v24, v1
	v_mul_f64_e32 v[0:1], s[10:11], v[11:12]
	v_lshl_or_b32 v11, v21, 12, v2
	v_cmp_gt_i32_e64 s0, 1, v21
	v_and_or_b32 v4, 0x8000, v4, v10
	v_fma_f16 v12, v109, v15, -v14
	v_bfe_u32 v14, v9, 20, 11
	v_and_b32_e32 v17, 0xffff, v20
	s_wait_alu 0xf1ff
	v_cndmask_b32_e64 v13, v11, v13, s0
	v_cmp_ne_u32_e64 s0, 0, v8
	v_cvt_f32_f16_e32 v11, v12
	v_lshrrev_b32_e32 v12, 8, v9
	v_mul_f16_e32 v20, v23, v16
	v_and_b32_e32 v15, 7, v13
	s_wait_alu 0xf1ff
	v_cndmask_b32_e64 v8, 0, 1, s0
	v_cvt_f64_f32_e32 v[10:11], v11
	v_fmac_f16_e32 v20, v108, v5
	v_cmp_lt_i32_e64 s0, 5, v15
	s_delay_alu instid0(VALU_DEP_4)
	v_and_or_b32 v8, 0xffe, v12, v8
	v_sub_nc_u32_e32 v12, 0x3f1, v14
	v_cmp_eq_u32_e64 s1, 3, v15
	v_lshl_or_b32 v15, v4, 16, v17
	v_lshrrev_b32_e32 v4, 2, v13
	v_or_b32_e32 v19, 0x1000, v8
	v_med3_i32 v12, v12, 0, 13
	s_or_b32 s0, s1, s0
	v_add_nc_u32_e32 v14, 0xfffffc10, v14
	s_wait_alu 0xfffe
	v_add_co_ci_u32_e64 v4, s0, 0, v4, s0
	v_lshrrev_b32_e32 v17, v12, v19
	v_cmp_ne_u32_e64 s0, 0, v2
	v_mul_f16_e32 v5, v23, v5
	v_lshl_or_b32 v23, v14, 12, v8
	s_delay_alu instid0(VALU_DEP_4)
	v_lshlrev_b32_e32 v22, v12, v17
	s_wait_alu 0xf1ff
	v_cndmask_b32_e64 v2, 0, 1, s0
	v_cvt_f32_f16_e32 v12, v20
	v_cmp_gt_i32_e64 s0, 31, v21
	v_and_or_b32 v0, 0x1ff, v1, v0
	v_fma_f16 v16, v108, v16, -v5
	v_lshl_or_b32 v2, v2, 9, 0x7c00
	v_cvt_f64_f32_e32 v[12:13], v12
	s_wait_alu 0xf1ff
	v_cndmask_b32_e64 v20, 0x7c00, v4, s0
	v_cmp_ne_u32_e64 s0, v22, v19
	v_lshrrev_b32_e32 v19, 8, v1
	v_bfe_u32 v22, v1, 20, 11
	v_lshrrev_b32_e32 v1, 16, v1
	s_wait_alu 0xf1ff
	v_cndmask_b32_e64 v4, 0, 1, s0
	v_cmp_ne_u32_e64 s0, 0, v0
	s_delay_alu instid0(VALU_DEP_2) | instskip(SKIP_1) | instid1(VALU_DEP_2)
	v_or_b32_e32 v17, v17, v4
	s_wait_alu 0xf1ff
	v_cndmask_b32_e64 v0, 0, 1, s0
	v_cmp_gt_i32_e64 s0, 1, v14
	v_mul_f64_e32 v[4:5], s[10:11], v[10:11]
	v_sub_nc_u32_e32 v10, 0x3f1, v22
	v_cvt_f32_f16_e32 v11, v16
	v_and_or_b32 v0, 0xffe, v19, v0
	s_wait_alu 0xf1ff
	v_cndmask_b32_e64 v16, v23, v17, s0
	v_cmp_eq_u32_e64 s0, 0x40f, v21
	v_med3_i32 v19, v10, 0, 13
	v_cvt_f64_f32_e32 v[10:11], v11
	v_or_b32_e32 v17, 0x1000, v0
	v_and_b32_e32 v23, 7, v16
	s_wait_alu 0xf1ff
	v_cndmask_b32_e64 v20, v20, v2, s0
	v_add_co_u32 v2, s0, v6, s4
	v_lshrrev_b32_e32 v24, v19, v17
	v_lshrrev_b32_e32 v21, 16, v3
	s_wait_alu 0xf1ff
	v_add_co_ci_u32_e64 v3, s0, s5, v7, s0
	v_cmp_lt_i32_e64 s0, 5, v23
	v_cmp_eq_u32_e64 s1, 3, v23
	v_lshrrev_b32_e32 v16, 2, v16
	v_lshlrev_b32_e32 v19, v19, v24
	v_and_or_b32 v20, 0x8000, v21, v20
	s_delay_alu instid0(VALU_DEP_4)
	s_or_b32 s0, s1, s0
	v_mul_f64_e32 v[12:13], s[10:11], v[12:13]
	s_wait_alu 0xfffe
	v_add_co_ci_u32_e64 v16, s0, 0, v16, s0
	v_cmp_ne_u32_e64 s2, v19, v17
	v_cmp_ne_u32_e64 s0, 0, v8
	v_add_nc_u32_e32 v19, 0xfffffc10, v22
	s_wait_alu 0xf1ff
	s_delay_alu instid0(VALU_DEP_3) | instskip(NEXT) | instid1(VALU_DEP_3)
	v_cndmask_b32_e64 v17, 0, 1, s2
	v_cndmask_b32_e64 v8, 0, 1, s0
	v_cmp_gt_i32_e64 s0, 31, v14
	v_lshl_or_b32 v21, v19, 12, v0
	s_delay_alu instid0(VALU_DEP_4) | instskip(NEXT) | instid1(VALU_DEP_4)
	v_or_b32_e32 v17, v24, v17
	v_lshl_or_b32 v8, v8, 9, 0x7c00
	s_wait_alu 0xf1ff
	v_cndmask_b32_e64 v16, 0x7c00, v16, s0
	v_cmp_gt_i32_e64 s0, 1, v19
	v_and_or_b32 v4, 0x1ff, v5, v4
	v_lshrrev_b32_e32 v22, 8, v5
	s_wait_alu 0xf1ff
	s_delay_alu instid0(VALU_DEP_3) | instskip(SKIP_1) | instid1(VALU_DEP_2)
	v_cndmask_b32_e64 v17, v21, v17, s0
	v_cmp_eq_u32_e64 s0, 0x40f, v14
	v_and_b32_e32 v21, 7, v17
	s_wait_alu 0xf1ff
	s_delay_alu instid0(VALU_DEP_2)
	v_cndmask_b32_e64 v14, v16, v8, s0
	v_lshrrev_b32_e32 v16, 16, v9
	v_cmp_ne_u32_e64 s0, 0, v4
	v_mul_f64_e32 v[8:9], s[10:11], v[10:11]
	v_bfe_u32 v10, v5, 20, 11
	v_cmp_eq_u32_e64 s1, 3, v21
	v_and_or_b32 v11, 0x8000, v16, v14
	v_and_b32_e32 v14, 0xffff, v20
	s_wait_alu 0xf1ff
	v_cndmask_b32_e64 v4, 0, 1, s0
	v_cmp_lt_i32_e64 s0, 5, v21
	v_sub_nc_u32_e32 v16, 0x3f1, v10
	v_and_or_b32 v12, 0x1ff, v13, v12
	v_lshl_or_b32 v11, v11, 16, v14
	v_lshrrev_b32_e32 v14, 2, v17
	v_and_or_b32 v4, 0xffe, v22, v4
	s_or_b32 s0, s1, s0
	v_med3_i32 v16, v16, 0, 13
	v_lshrrev_b32_e32 v21, 8, v13
	s_wait_alu 0xfffe
	v_add_co_ci_u32_e64 v14, s0, 0, v14, s0
	v_or_b32_e32 v17, 0x1000, v4
	v_cmp_ne_u32_e64 s0, 0, v0
	v_bfe_u32 v22, v13, 20, 11
	v_add_nc_u32_e32 v10, 0xfffffc10, v10
	v_lshrrev_b32_e32 v5, 16, v5
	v_lshrrev_b32_e32 v20, v16, v17
	s_wait_alu 0xf1ff
	v_cndmask_b32_e64 v0, 0, 1, s0
	v_cmp_gt_i32_e64 s0, 31, v19
	s_delay_alu instid0(VALU_DEP_3) | instskip(NEXT) | instid1(VALU_DEP_3)
	v_lshlrev_b32_e32 v16, v16, v20
	v_lshl_or_b32 v0, v0, 9, 0x7c00
	s_wait_alu 0xf1ff
	s_delay_alu instid0(VALU_DEP_3) | instskip(SKIP_2) | instid1(VALU_DEP_1)
	v_cndmask_b32_e64 v14, 0x7c00, v14, s0
	v_cmp_ne_u32_e64 s0, 0, v12
	s_wait_alu 0xf1ff
	v_cndmask_b32_e64 v12, 0, 1, s0
	v_cmp_ne_u32_e64 s0, v16, v17
	v_sub_nc_u32_e32 v17, 0x3f1, v22
	v_and_or_b32 v8, 0x1ff, v9, v8
	s_delay_alu instid0(VALU_DEP_4)
	v_and_or_b32 v12, 0xffe, v21, v12
	s_wait_alu 0xf1ff
	v_cndmask_b32_e64 v16, 0, 1, s0
	v_cmp_eq_u32_e64 s0, 0x40f, v19
	v_med3_i32 v17, v17, 0, 13
	v_bfe_u32 v21, v9, 20, 11
	v_or_b32_e32 v19, 0x1000, v12
	s_wait_alu 0xf1ff
	v_cndmask_b32_e64 v0, v14, v0, s0
	v_or_b32_e32 v14, v20, v16
	v_lshl_or_b32 v16, v10, 12, v4
	v_cmp_gt_i32_e64 s0, 1, v10
	v_lshrrev_b32_e32 v20, 8, v9
	v_and_or_b32 v0, 0x8000, v1, v0
	s_wait_alu 0xf1ff
	s_delay_alu instid0(VALU_DEP_3) | instskip(SKIP_3) | instid1(VALU_DEP_4)
	v_cndmask_b32_e64 v14, v16, v14, s0
	v_lshrrev_b32_e32 v16, v17, v19
	v_cmp_ne_u32_e64 s0, 0, v8
	v_and_b32_e32 v0, 0xffff, v0
	v_and_b32_e32 v23, 7, v14
	s_delay_alu instid0(VALU_DEP_4)
	v_lshlrev_b32_e32 v17, v17, v16
	s_wait_alu 0xf1ff
	v_cndmask_b32_e64 v8, 0, 1, s0
	v_lshrrev_b32_e32 v14, 2, v14
	v_cmp_lt_i32_e64 s0, 5, v23
	v_cmp_ne_u32_e64 s1, v17, v19
	s_delay_alu instid0(VALU_DEP_4)
	v_and_or_b32 v1, 0xffe, v20, v8
	v_sub_nc_u32_e32 v8, 0x3f1, v21
	v_add_nc_u32_e32 v20, 0xfffffc10, v22
	s_wait_alu 0xf1ff
	v_cndmask_b32_e64 v17, 0, 1, s1
	v_cmp_eq_u32_e64 s1, 3, v23
	v_or_b32_e32 v19, 0x1000, v1
	v_med3_i32 v8, v8, 0, 13
	v_lshl_or_b32 v22, v20, 12, v12
	v_or_b32_e32 v16, v16, v17
	s_or_b32 s0, s1, s0
	s_wait_alu 0xfffe
	v_add_co_ci_u32_e64 v14, s0, 0, v14, s0
	v_lshrrev_b32_e32 v17, v8, v19
	v_cmp_gt_i32_e64 s0, 1, v20
	s_delay_alu instid0(VALU_DEP_2) | instskip(SKIP_1) | instid1(VALU_DEP_2)
	v_lshlrev_b32_e32 v8, v8, v17
	s_wait_alu 0xf1ff
	v_cndmask_b32_e64 v16, v22, v16, s0
	v_cmp_ne_u32_e64 s0, 0, v4
	s_wait_alu 0xf1ff
	s_delay_alu instid0(VALU_DEP_1) | instskip(SKIP_3) | instid1(VALU_DEP_4)
	v_cndmask_b32_e64 v4, 0, 1, s0
	v_cmp_ne_u32_e64 s0, v8, v19
	v_add_nc_u32_e32 v19, 0xfffffc10, v21
	v_and_b32_e32 v21, 7, v16
	v_lshl_or_b32 v4, v4, 9, 0x7c00
	s_wait_alu 0xf1ff
	v_cndmask_b32_e64 v8, 0, 1, s0
	v_cmp_gt_i32_e64 s0, 31, v10
	v_cmp_gt_i32_e64 s2, 1, v19
	v_cmp_eq_u32_e64 s1, 3, v21
	s_delay_alu instid0(VALU_DEP_4) | instskip(SKIP_4) | instid1(VALU_DEP_3)
	v_or_b32_e32 v8, v17, v8
	v_lshl_or_b32 v17, v19, 12, v1
	s_wait_alu 0xf1ff
	v_cndmask_b32_e64 v14, 0x7c00, v14, s0
	v_cmp_lt_i32_e64 s0, 5, v21
	v_cndmask_b32_e64 v8, v17, v8, s2
	v_cmp_eq_u32_e64 s2, 0x40f, v10
	v_lshrrev_b32_e32 v10, 2, v16
	s_delay_alu instid0(VALU_DEP_4) | instskip(NEXT) | instid1(VALU_DEP_2)
	s_or_b32 s0, s1, s0
	v_cndmask_b32_e64 v4, v14, v4, s2
	s_wait_alu 0xfffe
	s_delay_alu instid0(VALU_DEP_2) | instskip(SKIP_4) | instid1(VALU_DEP_4)
	v_add_co_ci_u32_e64 v10, s0, 0, v10, s0
	v_and_b32_e32 v14, 7, v8
	v_cmp_ne_u32_e64 s0, 0, v12
	v_lshrrev_b32_e32 v8, 2, v8
	v_cmp_gt_i32_e64 s2, 31, v20
	v_cmp_eq_u32_e64 s1, 3, v14
	s_wait_alu 0xf1ff
	v_cndmask_b32_e64 v12, 0, 1, s0
	v_cmp_lt_i32_e64 s0, 5, v14
	v_cndmask_b32_e64 v10, 0x7c00, v10, s2
	s_delay_alu instid0(VALU_DEP_3) | instskip(NEXT) | instid1(VALU_DEP_3)
	v_lshl_or_b32 v12, v12, 9, 0x7c00
	s_or_b32 s0, s1, s0
	s_wait_alu 0xfffe
	v_add_co_ci_u32_e64 v8, s0, 0, v8, s0
	v_cmp_ne_u32_e64 s0, 0, v1
	s_wait_alu 0xf1ff
	s_delay_alu instid0(VALU_DEP_1) | instskip(SKIP_1) | instid1(VALU_DEP_2)
	v_cndmask_b32_e64 v1, 0, 1, s0
	v_cmp_eq_u32_e64 s0, 0x40f, v20
	v_lshl_or_b32 v1, v1, 9, 0x7c00
	s_wait_alu 0xf1ff
	s_delay_alu instid0(VALU_DEP_2) | instskip(SKIP_4) | instid1(VALU_DEP_3)
	v_cndmask_b32_e64 v10, v10, v12, s0
	v_cmp_gt_i32_e64 s0, 31, v19
	v_lshrrev_b32_e32 v12, 16, v13
	v_and_or_b32 v13, 0x8000, v5, v4
	s_wait_alu 0xf1ff
	v_cndmask_b32_e64 v8, 0x7c00, v8, s0
	v_cmp_eq_u32_e64 s0, 0x40f, v19
	v_and_or_b32 v10, 0x8000, v12, v10
	v_lshl_or_b32 v12, v13, 16, v0
	s_wait_alu 0xf1ff
	s_delay_alu instid0(VALU_DEP_3) | instskip(SKIP_4) | instid1(VALU_DEP_3)
	v_cndmask_b32_e64 v1, v8, v1, s0
	v_lshrrev_b32_e32 v8, 16, v9
	v_add_co_u32 v4, s0, v2, s6
	s_wait_alu 0xf1ff
	v_add_co_ci_u32_e64 v5, s0, s7, v3, s0
	v_and_or_b32 v0, 0x8000, v8, v1
	v_and_b32_e32 v1, 0xffff, v10
	v_add_co_u32 v8, s0, v4, s6
	s_wait_alu 0xf1ff
	v_add_co_ci_u32_e64 v9, s0, s7, v5, s0
	s_delay_alu instid0(VALU_DEP_3) | instskip(NEXT) | instid1(VALU_DEP_3)
	v_lshl_or_b32 v10, v0, 16, v1
	v_add_co_u32 v0, s0, v8, s6
	s_wait_alu 0xf1ff
	s_delay_alu instid0(VALU_DEP_3)
	v_add_co_ci_u32_e64 v1, s0, s7, v9, s0
	global_store_b32 v[6:7], v18, off
	global_store_b32 v[2:3], v15, off
	;; [unrolled: 1-line block ×5, first 2 shown]
	s_and_b32 exec_lo, exec_lo, vcc_lo
	s_cbranch_execz .LBB0_31
; %bb.30:
	global_load_b32 v2, v[78:79], off offset:10752
	ds_load_b32 v3, v107 offset:10752
	ds_load_b32 v6, v107 offset:21952
	;; [unrolled: 1-line block ×3, first 2 shown]
	s_wait_dscnt 0x2
	v_lshrrev_b32_e32 v4, 16, v3
	s_wait_loadcnt 0x0
	v_lshrrev_b32_e32 v5, 16, v2
	s_delay_alu instid0(VALU_DEP_1) | instskip(SKIP_1) | instid1(VALU_DEP_2)
	v_mul_f16_e32 v8, v4, v5
	v_mul_f16_e32 v5, v3, v5
	v_fmac_f16_e32 v8, v3, v2
	s_delay_alu instid0(VALU_DEP_2) | instskip(NEXT) | instid1(VALU_DEP_2)
	v_fma_f16 v2, v2, v4, -v5
	v_cvt_f32_f16_e32 v3, v8
	s_delay_alu instid0(VALU_DEP_2) | instskip(NEXT) | instid1(VALU_DEP_2)
	v_cvt_f32_f16_e32 v4, v2
	v_cvt_f64_f32_e32 v[2:3], v3
	s_delay_alu instid0(VALU_DEP_2) | instskip(NEXT) | instid1(VALU_DEP_2)
	v_cvt_f64_f32_e32 v[4:5], v4
	v_mul_f64_e32 v[2:3], s[10:11], v[2:3]
	s_delay_alu instid0(VALU_DEP_2) | instskip(NEXT) | instid1(VALU_DEP_2)
	v_mul_f64_e32 v[4:5], s[10:11], v[4:5]
	v_and_or_b32 v2, 0x1ff, v3, v2
	s_delay_alu instid0(VALU_DEP_2)
	v_and_or_b32 v4, 0x1ff, v5, v4
	v_lshrrev_b32_e32 v8, 8, v3
	v_bfe_u32 v9, v3, 20, 11
	v_lshrrev_b32_e32 v10, 8, v5
	v_cmp_ne_u32_e32 vcc_lo, 0, v2
	v_bfe_u32 v11, v5, 20, 11
	v_lshrrev_b32_e32 v3, 16, v3
	v_sub_nc_u32_e32 v12, 0x3f1, v9
	v_lshrrev_b32_e32 v5, 16, v5
	s_wait_alu 0xfffd
	v_cndmask_b32_e64 v2, 0, 1, vcc_lo
	v_cmp_ne_u32_e32 vcc_lo, 0, v4
	s_delay_alu instid0(VALU_DEP_2) | instskip(SKIP_3) | instid1(VALU_DEP_2)
	v_and_or_b32 v2, 0xffe, v8, v2
	s_wait_alu 0xfffd
	v_cndmask_b32_e64 v4, 0, 1, vcc_lo
	v_sub_nc_u32_e32 v8, 0x3f1, v11
	v_and_or_b32 v4, 0xffe, v10, v4
	v_med3_i32 v10, v12, 0, 13
	v_or_b32_e32 v12, 0x1000, v2
	s_delay_alu instid0(VALU_DEP_4) | instskip(NEXT) | instid1(VALU_DEP_4)
	v_med3_i32 v8, v8, 0, 13
	v_or_b32_e32 v13, 0x1000, v4
	s_delay_alu instid0(VALU_DEP_3) | instskip(NEXT) | instid1(VALU_DEP_2)
	v_lshrrev_b32_e32 v14, v10, v12
	v_lshrrev_b32_e32 v15, v8, v13
	s_delay_alu instid0(VALU_DEP_2) | instskip(NEXT) | instid1(VALU_DEP_2)
	v_lshlrev_b32_e32 v10, v10, v14
	v_lshlrev_b32_e32 v8, v8, v15
	s_delay_alu instid0(VALU_DEP_2) | instskip(SKIP_2) | instid1(VALU_DEP_3)
	v_cmp_ne_u32_e32 vcc_lo, v10, v12
	s_wait_alu 0xfffd
	v_cndmask_b32_e64 v10, 0, 1, vcc_lo
	v_cmp_ne_u32_e32 vcc_lo, v8, v13
	s_delay_alu instid0(VALU_DEP_2) | instskip(SKIP_3) | instid1(VALU_DEP_2)
	v_or_b32_e32 v10, v14, v10
	v_add_nc_u32_e32 v9, 0xfffffc10, v9
	s_wait_alu 0xfffd
	v_cndmask_b32_e64 v8, 0, 1, vcc_lo
	v_lshl_or_b32 v12, v9, 12, v2
	s_delay_alu instid0(VALU_DEP_2) | instskip(SKIP_2) | instid1(VALU_DEP_2)
	v_or_b32_e32 v8, v15, v8
	v_add_nc_u32_e32 v11, 0xfffffc10, v11
	v_cmp_gt_i32_e32 vcc_lo, 1, v9
	v_lshl_or_b32 v13, v11, 12, v4
	s_wait_alu 0xfffd
	v_cndmask_b32_e32 v10, v12, v10, vcc_lo
	v_cmp_gt_i32_e32 vcc_lo, 1, v11
	s_delay_alu instid0(VALU_DEP_2)
	v_and_b32_e32 v12, 7, v10
	s_wait_alu 0xfffd
	v_cndmask_b32_e32 v8, v13, v8, vcc_lo
	v_cmp_ne_u32_e32 vcc_lo, 0, v2
	v_lshrrev_b32_e32 v10, 2, v10
	v_cmp_eq_u32_e64 s0, 3, v12
	s_wait_alu 0xfffd
	v_cndmask_b32_e64 v2, 0, 1, vcc_lo
	v_cmp_ne_u32_e32 vcc_lo, 0, v4
	s_delay_alu instid0(VALU_DEP_2) | instskip(SKIP_3) | instid1(VALU_DEP_2)
	v_lshl_or_b32 v2, v2, 9, 0x7c00
	s_wait_alu 0xfffd
	v_cndmask_b32_e64 v4, 0, 1, vcc_lo
	v_cmp_lt_i32_e32 vcc_lo, 5, v12
	v_lshl_or_b32 v4, v4, 9, 0x7c00
	s_or_b32 vcc_lo, s0, vcc_lo
	s_wait_alu 0xfffe
	v_add_co_ci_u32_e32 v10, vcc_lo, 0, v10, vcc_lo
	v_and_b32_e32 v13, 7, v8
	v_lshrrev_b32_e32 v8, 2, v8
	s_delay_alu instid0(VALU_DEP_2) | instskip(SKIP_1) | instid1(VALU_DEP_1)
	v_cmp_lt_i32_e64 s1, 5, v13
	v_cmp_eq_u32_e64 s2, 3, v13
	s_or_b32 vcc_lo, s2, s1
	s_wait_alu 0xfffe
	v_add_co_ci_u32_e32 v8, vcc_lo, 0, v8, vcc_lo
	v_cmp_gt_i32_e32 vcc_lo, 31, v9
	s_wait_alu 0xfffd
	v_cndmask_b32_e32 v10, 0x7c00, v10, vcc_lo
	v_cmp_gt_i32_e32 vcc_lo, 31, v11
	s_wait_alu 0xfffd
	v_cndmask_b32_e32 v8, 0x7c00, v8, vcc_lo
	v_cmp_eq_u32_e32 vcc_lo, 0x40f, v9
	s_wait_alu 0xfffd
	v_cndmask_b32_e32 v2, v10, v2, vcc_lo
	v_cmp_eq_u32_e32 vcc_lo, 0x40f, v11
	s_delay_alu instid0(VALU_DEP_2)
	v_and_or_b32 v2, 0x8000, v3, v2
	s_wait_alu 0xfffd
	v_cndmask_b32_e32 v4, v8, v4, vcc_lo
	v_add_co_u32 v0, vcc_lo, v0, s4
	s_wait_alu 0xfffd
	v_add_co_ci_u32_e32 v1, vcc_lo, s5, v1, vcc_lo
	s_delay_alu instid0(VALU_DEP_3) | instskip(SKIP_1) | instid1(VALU_DEP_1)
	v_and_or_b32 v3, 0x8000, v5, v4
	v_and_b32_e32 v2, 0xffff, v2
	v_lshl_or_b32 v2, v3, 16, v2
	s_wait_dscnt 0x1
	v_lshrrev_b32_e32 v3, 16, v6
	global_store_b32 v[0:1], v2, off
	global_load_b32 v2, v[78:79], off offset:21952
	s_wait_loadcnt 0x0
	v_lshrrev_b32_e32 v4, 16, v2
	s_delay_alu instid0(VALU_DEP_1) | instskip(SKIP_1) | instid1(VALU_DEP_2)
	v_mul_f16_e32 v5, v3, v4
	v_mul_f16_e32 v4, v6, v4
	v_fmac_f16_e32 v5, v6, v2
	s_delay_alu instid0(VALU_DEP_2) | instskip(NEXT) | instid1(VALU_DEP_2)
	v_fma_f16 v2, v2, v3, -v4
	v_cvt_f32_f16_e32 v3, v5
	s_delay_alu instid0(VALU_DEP_2) | instskip(NEXT) | instid1(VALU_DEP_2)
	v_cvt_f32_f16_e32 v4, v2
	v_cvt_f64_f32_e32 v[2:3], v3
	s_delay_alu instid0(VALU_DEP_2) | instskip(NEXT) | instid1(VALU_DEP_2)
	v_cvt_f64_f32_e32 v[4:5], v4
	v_mul_f64_e32 v[2:3], s[10:11], v[2:3]
	s_delay_alu instid0(VALU_DEP_2) | instskip(NEXT) | instid1(VALU_DEP_2)
	v_mul_f64_e32 v[4:5], s[10:11], v[4:5]
	v_and_or_b32 v2, 0x1ff, v3, v2
	s_delay_alu instid0(VALU_DEP_2)
	v_and_or_b32 v4, 0x1ff, v5, v4
	v_lshrrev_b32_e32 v6, 8, v3
	v_bfe_u32 v8, v3, 20, 11
	v_lshrrev_b32_e32 v9, 8, v5
	v_cmp_ne_u32_e32 vcc_lo, 0, v2
	v_bfe_u32 v10, v5, 20, 11
	v_lshrrev_b32_e32 v3, 16, v3
	v_sub_nc_u32_e32 v11, 0x3f1, v8
	v_add_nc_u32_e32 v8, 0xfffffc10, v8
	s_wait_alu 0xfffd
	v_cndmask_b32_e64 v2, 0, 1, vcc_lo
	v_cmp_ne_u32_e32 vcc_lo, 0, v4
	v_lshrrev_b32_e32 v5, 16, v5
	s_delay_alu instid0(VALU_DEP_3) | instskip(SKIP_4) | instid1(VALU_DEP_3)
	v_and_or_b32 v2, 0xffe, v6, v2
	s_wait_alu 0xfffd
	v_cndmask_b32_e64 v4, 0, 1, vcc_lo
	v_sub_nc_u32_e32 v6, 0x3f1, v10
	v_add_nc_u32_e32 v10, 0xfffffc10, v10
	v_and_or_b32 v4, 0xffe, v9, v4
	v_med3_i32 v9, v11, 0, 13
	v_or_b32_e32 v11, 0x1000, v2
	v_med3_i32 v6, v6, 0, 13
	s_delay_alu instid0(VALU_DEP_4) | instskip(NEXT) | instid1(VALU_DEP_3)
	v_or_b32_e32 v12, 0x1000, v4
	v_lshrrev_b32_e32 v13, v9, v11
	s_delay_alu instid0(VALU_DEP_2) | instskip(NEXT) | instid1(VALU_DEP_2)
	v_lshrrev_b32_e32 v14, v6, v12
	v_lshlrev_b32_e32 v9, v9, v13
	s_delay_alu instid0(VALU_DEP_2) | instskip(NEXT) | instid1(VALU_DEP_2)
	v_lshlrev_b32_e32 v6, v6, v14
	v_cmp_ne_u32_e32 vcc_lo, v9, v11
	v_lshl_or_b32 v11, v8, 12, v2
	s_wait_alu 0xfffd
	v_cndmask_b32_e64 v9, 0, 1, vcc_lo
	v_cmp_ne_u32_e32 vcc_lo, v6, v12
	v_lshl_or_b32 v12, v10, 12, v4
	s_delay_alu instid0(VALU_DEP_3) | instskip(SKIP_3) | instid1(VALU_DEP_2)
	v_or_b32_e32 v9, v13, v9
	s_wait_alu 0xfffd
	v_cndmask_b32_e64 v6, 0, 1, vcc_lo
	v_cmp_gt_i32_e32 vcc_lo, 1, v8
	v_or_b32_e32 v6, v14, v6
	s_wait_alu 0xfffd
	v_cndmask_b32_e32 v9, v11, v9, vcc_lo
	v_cmp_gt_i32_e32 vcc_lo, 1, v10
	s_wait_alu 0xfffd
	s_delay_alu instid0(VALU_DEP_2) | instskip(SKIP_2) | instid1(VALU_DEP_3)
	v_dual_cndmask_b32 v6, v12, v6 :: v_dual_and_b32 v11, 7, v9
	v_cmp_ne_u32_e32 vcc_lo, 0, v2
	v_lshrrev_b32_e32 v9, 2, v9
	v_cmp_eq_u32_e64 s0, 3, v11
	s_delay_alu instid0(VALU_DEP_4)
	v_and_b32_e32 v12, 7, v6
	s_wait_alu 0xfffd
	v_cndmask_b32_e64 v2, 0, 1, vcc_lo
	v_cmp_ne_u32_e32 vcc_lo, 0, v4
	v_lshrrev_b32_e32 v6, 2, v6
	v_cmp_lt_i32_e64 s1, 5, v12
	v_cmp_eq_u32_e64 s2, 3, v12
	s_wait_alu 0xfffd
	v_cndmask_b32_e64 v4, 0, 1, vcc_lo
	v_cmp_lt_i32_e32 vcc_lo, 5, v11
	v_lshl_or_b32 v2, v2, 9, 0x7c00
	s_delay_alu instid0(VALU_DEP_3)
	v_lshl_or_b32 v4, v4, 9, 0x7c00
	s_or_b32 vcc_lo, s0, vcc_lo
	s_wait_alu 0xfffe
	v_add_co_ci_u32_e32 v9, vcc_lo, 0, v9, vcc_lo
	s_or_b32 vcc_lo, s2, s1
	s_wait_alu 0xfffe
	v_add_co_ci_u32_e32 v6, vcc_lo, 0, v6, vcc_lo
	v_cmp_gt_i32_e32 vcc_lo, 31, v8
	s_wait_alu 0xfffd
	v_cndmask_b32_e32 v9, 0x7c00, v9, vcc_lo
	v_cmp_gt_i32_e32 vcc_lo, 31, v10
	s_wait_alu 0xfffd
	v_cndmask_b32_e32 v6, 0x7c00, v6, vcc_lo
	v_cmp_eq_u32_e32 vcc_lo, 0x40f, v8
	s_wait_alu 0xfffd
	v_cndmask_b32_e32 v2, v9, v2, vcc_lo
	v_cmp_eq_u32_e32 vcc_lo, 0x40f, v10
	s_delay_alu instid0(VALU_DEP_2)
	v_and_or_b32 v2, 0x8000, v3, v2
	s_wait_alu 0xfffd
	v_cndmask_b32_e32 v4, v6, v4, vcc_lo
	v_add_co_u32 v0, vcc_lo, v0, s6
	s_wait_alu 0xfffd
	v_add_co_ci_u32_e32 v1, vcc_lo, s7, v1, vcc_lo
	s_delay_alu instid0(VALU_DEP_3) | instskip(SKIP_1) | instid1(VALU_DEP_1)
	v_and_or_b32 v3, 0x8000, v5, v4
	v_and_b32_e32 v2, 0xffff, v2
	v_lshl_or_b32 v2, v3, 16, v2
	ds_load_b32 v3, v107 offset:33152
	global_store_b32 v[0:1], v2, off
	global_load_b32 v2, v[78:79], off offset:33152
	s_wait_dscnt 0x0
	v_lshrrev_b32_e32 v4, 16, v3
	s_wait_loadcnt 0x0
	v_lshrrev_b32_e32 v5, 16, v2
	s_delay_alu instid0(VALU_DEP_1) | instskip(SKIP_1) | instid1(VALU_DEP_2)
	v_mul_f16_e32 v6, v4, v5
	v_mul_f16_e32 v5, v3, v5
	v_fmac_f16_e32 v6, v3, v2
	s_delay_alu instid0(VALU_DEP_2) | instskip(NEXT) | instid1(VALU_DEP_2)
	v_fma_f16 v2, v2, v4, -v5
	v_cvt_f32_f16_e32 v3, v6
	s_delay_alu instid0(VALU_DEP_2) | instskip(NEXT) | instid1(VALU_DEP_2)
	v_cvt_f32_f16_e32 v4, v2
	v_cvt_f64_f32_e32 v[2:3], v3
	s_delay_alu instid0(VALU_DEP_2) | instskip(NEXT) | instid1(VALU_DEP_2)
	v_cvt_f64_f32_e32 v[4:5], v4
	v_mul_f64_e32 v[2:3], s[10:11], v[2:3]
	s_delay_alu instid0(VALU_DEP_2) | instskip(NEXT) | instid1(VALU_DEP_2)
	v_mul_f64_e32 v[4:5], s[10:11], v[4:5]
	v_and_or_b32 v2, 0x1ff, v3, v2
	s_delay_alu instid0(VALU_DEP_2)
	v_and_or_b32 v4, 0x1ff, v5, v4
	v_lshrrev_b32_e32 v6, 8, v3
	v_bfe_u32 v8, v3, 20, 11
	v_lshrrev_b32_e32 v9, 8, v5
	v_cmp_ne_u32_e32 vcc_lo, 0, v2
	v_bfe_u32 v10, v5, 20, 11
	v_lshrrev_b32_e32 v3, 16, v3
	v_sub_nc_u32_e32 v11, 0x3f1, v8
	v_add_nc_u32_e32 v8, 0xfffffc10, v8
	s_wait_alu 0xfffd
	v_cndmask_b32_e64 v2, 0, 1, vcc_lo
	v_cmp_ne_u32_e32 vcc_lo, 0, v4
	v_lshrrev_b32_e32 v5, 16, v5
	s_delay_alu instid0(VALU_DEP_3) | instskip(SKIP_4) | instid1(VALU_DEP_3)
	v_and_or_b32 v2, 0xffe, v6, v2
	s_wait_alu 0xfffd
	v_cndmask_b32_e64 v4, 0, 1, vcc_lo
	v_sub_nc_u32_e32 v6, 0x3f1, v10
	v_add_nc_u32_e32 v10, 0xfffffc10, v10
	v_and_or_b32 v4, 0xffe, v9, v4
	v_med3_i32 v9, v11, 0, 13
	v_or_b32_e32 v11, 0x1000, v2
	v_med3_i32 v6, v6, 0, 13
	s_delay_alu instid0(VALU_DEP_4) | instskip(NEXT) | instid1(VALU_DEP_3)
	v_or_b32_e32 v12, 0x1000, v4
	v_lshrrev_b32_e32 v13, v9, v11
	s_delay_alu instid0(VALU_DEP_2) | instskip(NEXT) | instid1(VALU_DEP_2)
	v_lshrrev_b32_e32 v14, v6, v12
	v_lshlrev_b32_e32 v9, v9, v13
	s_delay_alu instid0(VALU_DEP_2) | instskip(NEXT) | instid1(VALU_DEP_2)
	v_lshlrev_b32_e32 v6, v6, v14
	v_cmp_ne_u32_e32 vcc_lo, v9, v11
	v_lshl_or_b32 v11, v8, 12, v2
	s_wait_alu 0xfffd
	v_cndmask_b32_e64 v9, 0, 1, vcc_lo
	v_cmp_ne_u32_e32 vcc_lo, v6, v12
	v_lshl_or_b32 v12, v10, 12, v4
	s_delay_alu instid0(VALU_DEP_3) | instskip(SKIP_3) | instid1(VALU_DEP_2)
	v_or_b32_e32 v9, v13, v9
	s_wait_alu 0xfffd
	v_cndmask_b32_e64 v6, 0, 1, vcc_lo
	v_cmp_gt_i32_e32 vcc_lo, 1, v8
	v_or_b32_e32 v6, v14, v6
	s_wait_alu 0xfffd
	v_cndmask_b32_e32 v9, v11, v9, vcc_lo
	v_cmp_gt_i32_e32 vcc_lo, 1, v10
	s_wait_alu 0xfffd
	s_delay_alu instid0(VALU_DEP_2) | instskip(SKIP_2) | instid1(VALU_DEP_3)
	v_dual_cndmask_b32 v6, v12, v6 :: v_dual_and_b32 v11, 7, v9
	v_cmp_ne_u32_e32 vcc_lo, 0, v2
	v_lshrrev_b32_e32 v9, 2, v9
	v_cmp_eq_u32_e64 s0, 3, v11
	s_delay_alu instid0(VALU_DEP_4)
	v_and_b32_e32 v12, 7, v6
	s_wait_alu 0xfffd
	v_cndmask_b32_e64 v2, 0, 1, vcc_lo
	v_cmp_ne_u32_e32 vcc_lo, 0, v4
	v_lshrrev_b32_e32 v6, 2, v6
	v_cmp_lt_i32_e64 s1, 5, v12
	v_cmp_eq_u32_e64 s2, 3, v12
	s_wait_alu 0xfffd
	v_cndmask_b32_e64 v4, 0, 1, vcc_lo
	v_cmp_lt_i32_e32 vcc_lo, 5, v11
	v_lshl_or_b32 v2, v2, 9, 0x7c00
	s_delay_alu instid0(VALU_DEP_3)
	v_lshl_or_b32 v4, v4, 9, 0x7c00
	s_or_b32 vcc_lo, s0, vcc_lo
	s_wait_alu 0xfffe
	v_add_co_ci_u32_e32 v9, vcc_lo, 0, v9, vcc_lo
	s_or_b32 vcc_lo, s2, s1
	s_wait_alu 0xfffe
	v_add_co_ci_u32_e32 v6, vcc_lo, 0, v6, vcc_lo
	v_cmp_gt_i32_e32 vcc_lo, 31, v8
	s_wait_alu 0xfffd
	v_cndmask_b32_e32 v9, 0x7c00, v9, vcc_lo
	v_cmp_gt_i32_e32 vcc_lo, 31, v10
	s_wait_alu 0xfffd
	v_cndmask_b32_e32 v6, 0x7c00, v6, vcc_lo
	v_cmp_eq_u32_e32 vcc_lo, 0x40f, v8
	s_wait_alu 0xfffd
	v_cndmask_b32_e32 v2, v9, v2, vcc_lo
	v_cmp_eq_u32_e32 vcc_lo, 0x40f, v10
	s_delay_alu instid0(VALU_DEP_2)
	v_and_or_b32 v2, 0x8000, v3, v2
	s_wait_alu 0xfffd
	v_cndmask_b32_e32 v4, v6, v4, vcc_lo
	v_add_co_u32 v0, vcc_lo, v0, s6
	s_wait_alu 0xfffd
	v_add_co_ci_u32_e32 v1, vcc_lo, s7, v1, vcc_lo
	s_delay_alu instid0(VALU_DEP_3) | instskip(SKIP_1) | instid1(VALU_DEP_1)
	v_and_or_b32 v3, 0x8000, v5, v4
	v_and_b32_e32 v2, 0xffff, v2
	v_lshl_or_b32 v2, v3, 16, v2
	v_lshrrev_b32_e32 v3, 16, v7
	global_store_b32 v[0:1], v2, off
	global_load_b32 v2, v[78:79], off offset:44352
	s_wait_loadcnt 0x0
	v_lshrrev_b32_e32 v4, 16, v2
	s_delay_alu instid0(VALU_DEP_1) | instskip(SKIP_1) | instid1(VALU_DEP_2)
	v_mul_f16_e32 v5, v3, v4
	v_mul_f16_e32 v4, v7, v4
	v_fmac_f16_e32 v5, v7, v2
	s_delay_alu instid0(VALU_DEP_2) | instskip(NEXT) | instid1(VALU_DEP_2)
	v_fma_f16 v2, v2, v3, -v4
	v_cvt_f32_f16_e32 v3, v5
	s_delay_alu instid0(VALU_DEP_2) | instskip(NEXT) | instid1(VALU_DEP_2)
	v_cvt_f32_f16_e32 v4, v2
	v_cvt_f64_f32_e32 v[2:3], v3
	s_delay_alu instid0(VALU_DEP_2) | instskip(NEXT) | instid1(VALU_DEP_2)
	v_cvt_f64_f32_e32 v[4:5], v4
	v_mul_f64_e32 v[2:3], s[10:11], v[2:3]
	s_delay_alu instid0(VALU_DEP_2) | instskip(NEXT) | instid1(VALU_DEP_2)
	v_mul_f64_e32 v[4:5], s[10:11], v[4:5]
	v_and_or_b32 v2, 0x1ff, v3, v2
	s_delay_alu instid0(VALU_DEP_2)
	v_and_or_b32 v4, 0x1ff, v5, v4
	v_lshrrev_b32_e32 v6, 8, v3
	v_bfe_u32 v7, v3, 20, 11
	v_lshrrev_b32_e32 v8, 8, v5
	v_cmp_ne_u32_e32 vcc_lo, 0, v2
	v_bfe_u32 v9, v5, 20, 11
	v_lshrrev_b32_e32 v3, 16, v3
	v_sub_nc_u32_e32 v10, 0x3f1, v7
	v_add_nc_u32_e32 v7, 0xfffffc10, v7
	s_wait_alu 0xfffd
	v_cndmask_b32_e64 v2, 0, 1, vcc_lo
	v_cmp_ne_u32_e32 vcc_lo, 0, v4
	v_lshrrev_b32_e32 v5, 16, v5
	s_delay_alu instid0(VALU_DEP_3) | instskip(SKIP_4) | instid1(VALU_DEP_3)
	v_and_or_b32 v2, 0xffe, v6, v2
	s_wait_alu 0xfffd
	v_cndmask_b32_e64 v4, 0, 1, vcc_lo
	v_sub_nc_u32_e32 v6, 0x3f1, v9
	v_add_nc_u32_e32 v9, 0xfffffc10, v9
	v_and_or_b32 v4, 0xffe, v8, v4
	v_med3_i32 v8, v10, 0, 13
	v_or_b32_e32 v10, 0x1000, v2
	v_med3_i32 v6, v6, 0, 13
	s_delay_alu instid0(VALU_DEP_4) | instskip(NEXT) | instid1(VALU_DEP_3)
	v_or_b32_e32 v11, 0x1000, v4
	v_lshrrev_b32_e32 v12, v8, v10
	s_delay_alu instid0(VALU_DEP_2) | instskip(NEXT) | instid1(VALU_DEP_2)
	v_lshrrev_b32_e32 v13, v6, v11
	v_lshlrev_b32_e32 v8, v8, v12
	s_delay_alu instid0(VALU_DEP_2) | instskip(NEXT) | instid1(VALU_DEP_2)
	v_lshlrev_b32_e32 v6, v6, v13
	v_cmp_ne_u32_e32 vcc_lo, v8, v10
	v_lshl_or_b32 v10, v7, 12, v2
	s_wait_alu 0xfffd
	v_cndmask_b32_e64 v8, 0, 1, vcc_lo
	v_cmp_ne_u32_e32 vcc_lo, v6, v11
	v_lshl_or_b32 v11, v9, 12, v4
	s_delay_alu instid0(VALU_DEP_3) | instskip(SKIP_3) | instid1(VALU_DEP_2)
	v_or_b32_e32 v8, v12, v8
	s_wait_alu 0xfffd
	v_cndmask_b32_e64 v6, 0, 1, vcc_lo
	v_cmp_gt_i32_e32 vcc_lo, 1, v7
	v_or_b32_e32 v6, v13, v6
	s_wait_alu 0xfffd
	v_cndmask_b32_e32 v8, v10, v8, vcc_lo
	v_cmp_gt_i32_e32 vcc_lo, 1, v9
	s_delay_alu instid0(VALU_DEP_2)
	v_and_b32_e32 v10, 7, v8
	s_wait_alu 0xfffd
	v_cndmask_b32_e32 v6, v11, v6, vcc_lo
	v_cmp_ne_u32_e32 vcc_lo, 0, v2
	v_lshrrev_b32_e32 v8, 2, v8
	v_cmp_eq_u32_e64 s0, 3, v10
	s_delay_alu instid0(VALU_DEP_4)
	v_and_b32_e32 v11, 7, v6
	s_wait_alu 0xfffd
	v_cndmask_b32_e64 v2, 0, 1, vcc_lo
	v_cmp_ne_u32_e32 vcc_lo, 0, v4
	v_lshrrev_b32_e32 v6, 2, v6
	v_cmp_lt_i32_e64 s1, 5, v11
	v_cmp_eq_u32_e64 s2, 3, v11
	s_wait_alu 0xfffd
	v_cndmask_b32_e64 v4, 0, 1, vcc_lo
	v_cmp_lt_i32_e32 vcc_lo, 5, v10
	v_lshl_or_b32 v2, v2, 9, 0x7c00
	s_delay_alu instid0(VALU_DEP_3)
	v_lshl_or_b32 v4, v4, 9, 0x7c00
	s_or_b32 vcc_lo, s0, vcc_lo
	s_wait_alu 0xfffe
	v_add_co_ci_u32_e32 v8, vcc_lo, 0, v8, vcc_lo
	s_or_b32 vcc_lo, s2, s1
	s_wait_alu 0xfffe
	v_add_co_ci_u32_e32 v6, vcc_lo, 0, v6, vcc_lo
	v_cmp_gt_i32_e32 vcc_lo, 31, v7
	s_wait_alu 0xfffd
	v_cndmask_b32_e32 v8, 0x7c00, v8, vcc_lo
	v_cmp_gt_i32_e32 vcc_lo, 31, v9
	s_wait_alu 0xfffd
	v_cndmask_b32_e32 v6, 0x7c00, v6, vcc_lo
	v_cmp_eq_u32_e32 vcc_lo, 0x40f, v7
	s_wait_alu 0xfffd
	v_cndmask_b32_e32 v2, v8, v2, vcc_lo
	v_cmp_eq_u32_e32 vcc_lo, 0x40f, v9
	s_delay_alu instid0(VALU_DEP_2)
	v_and_or_b32 v2, 0x8000, v3, v2
	s_wait_alu 0xfffd
	v_cndmask_b32_e32 v4, v6, v4, vcc_lo
	v_add_co_u32 v0, vcc_lo, v0, s6
	s_wait_alu 0xfffd
	v_add_co_ci_u32_e32 v1, vcc_lo, s7, v1, vcc_lo
	s_delay_alu instid0(VALU_DEP_3) | instskip(SKIP_1) | instid1(VALU_DEP_1)
	v_and_or_b32 v3, 0x8000, v5, v4
	v_and_b32_e32 v2, 0xffff, v2
	v_lshl_or_b32 v2, v3, 16, v2
	global_store_b32 v[0:1], v2, off
.LBB0_31:
	s_nop 0
	s_sendmsg sendmsg(MSG_DEALLOC_VGPRS)
	s_endpgm
	.section	.rodata,"a",@progbits
	.p2align	6, 0x0
	.amdhsa_kernel bluestein_single_back_len11200_dim1_half_op_CI_CI
		.amdhsa_group_segment_fixed_size 44800
		.amdhsa_private_segment_fixed_size 32
		.amdhsa_kernarg_size 104
		.amdhsa_user_sgpr_count 2
		.amdhsa_user_sgpr_dispatch_ptr 0
		.amdhsa_user_sgpr_queue_ptr 0
		.amdhsa_user_sgpr_kernarg_segment_ptr 1
		.amdhsa_user_sgpr_dispatch_id 0
		.amdhsa_user_sgpr_private_segment_size 0
		.amdhsa_wavefront_size32 1
		.amdhsa_uses_dynamic_stack 0
		.amdhsa_enable_private_segment 1
		.amdhsa_system_sgpr_workgroup_id_x 1
		.amdhsa_system_sgpr_workgroup_id_y 0
		.amdhsa_system_sgpr_workgroup_id_z 0
		.amdhsa_system_sgpr_workgroup_info 0
		.amdhsa_system_vgpr_workitem_id 0
		.amdhsa_next_free_vgpr 256
		.amdhsa_next_free_sgpr 18
		.amdhsa_reserve_vcc 1
		.amdhsa_float_round_mode_32 0
		.amdhsa_float_round_mode_16_64 0
		.amdhsa_float_denorm_mode_32 3
		.amdhsa_float_denorm_mode_16_64 3
		.amdhsa_fp16_overflow 0
		.amdhsa_workgroup_processor_mode 1
		.amdhsa_memory_ordered 1
		.amdhsa_forward_progress 0
		.amdhsa_round_robin_scheduling 0
		.amdhsa_exception_fp_ieee_invalid_op 0
		.amdhsa_exception_fp_denorm_src 0
		.amdhsa_exception_fp_ieee_div_zero 0
		.amdhsa_exception_fp_ieee_overflow 0
		.amdhsa_exception_fp_ieee_underflow 0
		.amdhsa_exception_fp_ieee_inexact 0
		.amdhsa_exception_int_div_zero 0
	.end_amdhsa_kernel
	.text
.Lfunc_end0:
	.size	bluestein_single_back_len11200_dim1_half_op_CI_CI, .Lfunc_end0-bluestein_single_back_len11200_dim1_half_op_CI_CI
                                        ; -- End function
	.section	.AMDGPU.csdata,"",@progbits
; Kernel info:
; codeLenInByte = 56808
; NumSgprs: 20
; NumVgprs: 256
; ScratchSize: 32
; MemoryBound: 0
; FloatMode: 240
; IeeeMode: 1
; LDSByteSize: 44800 bytes/workgroup (compile time only)
; SGPRBlocks: 2
; VGPRBlocks: 31
; NumSGPRsForWavesPerEU: 20
; NumVGPRsForWavesPerEU: 256
; Occupancy: 5
; WaveLimiterHint : 1
; COMPUTE_PGM_RSRC2:SCRATCH_EN: 1
; COMPUTE_PGM_RSRC2:USER_SGPR: 2
; COMPUTE_PGM_RSRC2:TRAP_HANDLER: 0
; COMPUTE_PGM_RSRC2:TGID_X_EN: 1
; COMPUTE_PGM_RSRC2:TGID_Y_EN: 0
; COMPUTE_PGM_RSRC2:TGID_Z_EN: 0
; COMPUTE_PGM_RSRC2:TIDIG_COMP_CNT: 0
	.text
	.p2alignl 7, 3214868480
	.fill 96, 4, 3214868480
	.type	__hip_cuid_f6c5694a226d3ca7,@object ; @__hip_cuid_f6c5694a226d3ca7
	.section	.bss,"aw",@nobits
	.globl	__hip_cuid_f6c5694a226d3ca7
__hip_cuid_f6c5694a226d3ca7:
	.byte	0                               ; 0x0
	.size	__hip_cuid_f6c5694a226d3ca7, 1

	.ident	"AMD clang version 19.0.0git (https://github.com/RadeonOpenCompute/llvm-project roc-6.4.0 25133 c7fe45cf4b819c5991fe208aaa96edf142730f1d)"
	.section	".note.GNU-stack","",@progbits
	.addrsig
	.addrsig_sym __hip_cuid_f6c5694a226d3ca7
	.amdgpu_metadata
---
amdhsa.kernels:
  - .args:
      - .actual_access:  read_only
        .address_space:  global
        .offset:         0
        .size:           8
        .value_kind:     global_buffer
      - .actual_access:  read_only
        .address_space:  global
        .offset:         8
        .size:           8
        .value_kind:     global_buffer
      - .actual_access:  read_only
        .address_space:  global
        .offset:         16
        .size:           8
        .value_kind:     global_buffer
      - .actual_access:  read_only
        .address_space:  global
        .offset:         24
        .size:           8
        .value_kind:     global_buffer
      - .actual_access:  read_only
        .address_space:  global
        .offset:         32
        .size:           8
        .value_kind:     global_buffer
      - .offset:         40
        .size:           8
        .value_kind:     by_value
      - .address_space:  global
        .offset:         48
        .size:           8
        .value_kind:     global_buffer
      - .address_space:  global
        .offset:         56
        .size:           8
        .value_kind:     global_buffer
      - .address_space:  global
        .offset:         64
        .size:           8
        .value_kind:     global_buffer
      - .address_space:  global
        .offset:         72
        .size:           8
        .value_kind:     global_buffer
      - .offset:         80
        .size:           4
        .value_kind:     by_value
      - .address_space:  global
        .offset:         88
        .size:           8
        .value_kind:     global_buffer
      - .address_space:  global
        .offset:         96
        .size:           8
        .value_kind:     global_buffer
    .group_segment_fixed_size: 44800
    .kernarg_segment_align: 8
    .kernarg_segment_size: 104
    .language:       OpenCL C
    .language_version:
      - 2
      - 0
    .max_flat_workgroup_size: 448
    .name:           bluestein_single_back_len11200_dim1_half_op_CI_CI
    .private_segment_fixed_size: 32
    .sgpr_count:     20
    .sgpr_spill_count: 0
    .symbol:         bluestein_single_back_len11200_dim1_half_op_CI_CI.kd
    .uniform_work_group_size: 1
    .uses_dynamic_stack: false
    .vgpr_count:     256
    .vgpr_spill_count: 7
    .wavefront_size: 32
    .workgroup_processor_mode: 1
amdhsa.target:   amdgcn-amd-amdhsa--gfx1201
amdhsa.version:
  - 1
  - 2
...

	.end_amdgpu_metadata
